;; amdgpu-corpus repo=ROCm/rocFFT kind=compiled arch=gfx1201 opt=O3
	.text
	.amdgcn_target "amdgcn-amd-amdhsa--gfx1201"
	.amdhsa_code_object_version 6
	.protected	bluestein_single_back_len1820_dim1_sp_op_CI_CI ; -- Begin function bluestein_single_back_len1820_dim1_sp_op_CI_CI
	.globl	bluestein_single_back_len1820_dim1_sp_op_CI_CI
	.p2align	8
	.type	bluestein_single_back_len1820_dim1_sp_op_CI_CI,@function
bluestein_single_back_len1820_dim1_sp_op_CI_CI: ; @bluestein_single_back_len1820_dim1_sp_op_CI_CI
; %bb.0:
	s_load_b128 s[12:15], s[0:1], 0x28
	v_mul_u32_u24_e32 v1, 0x169, v0
	s_mov_b32 s2, exec_lo
	v_mov_b32_e32 v73, 0
	s_delay_alu instid0(VALU_DEP_2) | instskip(NEXT) | instid1(VALU_DEP_1)
	v_lshrrev_b32_e32 v1, 16, v1
	v_add_nc_u32_e32 v72, ttmp9, v1
	s_wait_kmcnt 0x0
	s_delay_alu instid0(VALU_DEP_1)
	v_cmpx_gt_u64_e64 s[12:13], v[72:73]
	s_cbranch_execz .LBB0_18
; %bb.1:
	s_clause 0x1
	s_load_b128 s[4:7], s[0:1], 0x18
	s_load_b128 s[8:11], s[0:1], 0x0
	v_mul_lo_u16 v1, 0xb6, v1
	s_delay_alu instid0(VALU_DEP_1) | instskip(NEXT) | instid1(VALU_DEP_1)
	v_sub_nc_u16 v26, v0, v1
	v_and_b32_e32 v107, 0xffff, v26
	s_delay_alu instid0(VALU_DEP_1)
	v_lshlrev_b32_e32 v108, 3, v107
	s_wait_kmcnt 0x0
	s_load_b128 s[16:19], s[4:5], 0x0
	s_clause 0x7
	global_load_b64 v[91:92], v108, s[8:9]
	global_load_b64 v[89:90], v108, s[8:9] offset:1456
	global_load_b64 v[79:80], v108, s[8:9] offset:2912
	;; [unrolled: 1-line block ×7, first 2 shown]
	v_add_nc_u32_e32 v28, 0x1600, v108
	s_wait_kmcnt 0x0
	v_mad_co_u64_u32 v[0:1], null, s18, v72, 0
	v_mad_co_u64_u32 v[2:3], null, s16, v107, 0
	s_mul_u64 s[2:3], s[16:17], 0x5b0
	s_delay_alu instid0(VALU_DEP_1) | instskip(NEXT) | instid1(VALU_DEP_1)
	v_mad_co_u64_u32 v[4:5], null, s19, v72, v[1:2]
	v_mad_co_u64_u32 v[5:6], null, s17, v107, v[3:4]
	v_mov_b32_e32 v1, v4
	s_delay_alu instid0(VALU_DEP_1) | instskip(NEXT) | instid1(VALU_DEP_3)
	v_lshlrev_b64_e32 v[0:1], 3, v[0:1]
	v_mov_b32_e32 v3, v5
	s_delay_alu instid0(VALU_DEP_2) | instskip(NEXT) | instid1(VALU_DEP_2)
	v_add_co_u32 v0, vcc_lo, s14, v0
	v_lshlrev_b64_e32 v[2:3], 3, v[2:3]
	s_delay_alu instid0(VALU_DEP_4) | instskip(NEXT) | instid1(VALU_DEP_2)
	v_add_co_ci_u32_e32 v1, vcc_lo, s15, v1, vcc_lo
	v_add_co_u32 v0, vcc_lo, v0, v2
	s_wait_alu 0xfffd
	s_delay_alu instid0(VALU_DEP_2) | instskip(NEXT) | instid1(VALU_DEP_2)
	v_add_co_ci_u32_e32 v1, vcc_lo, v1, v3, vcc_lo
	v_add_co_u32 v2, vcc_lo, v0, s2
	s_wait_alu 0xfffd
	s_delay_alu instid0(VALU_DEP_2) | instskip(SKIP_4) | instid1(VALU_DEP_2)
	v_add_co_ci_u32_e32 v3, vcc_lo, s3, v1, vcc_lo
	global_load_b64 v[8:9], v[0:1], off
	v_add_co_u32 v4, vcc_lo, v2, s2
	s_wait_alu 0xfffd
	v_add_co_ci_u32_e32 v5, vcc_lo, s3, v3, vcc_lo
	v_add_co_u32 v6, vcc_lo, v4, s2
	s_wait_alu 0xfffd
	s_delay_alu instid0(VALU_DEP_2) | instskip(NEXT) | instid1(VALU_DEP_2)
	v_add_co_ci_u32_e32 v7, vcc_lo, s3, v5, vcc_lo
	v_add_co_u32 v0, vcc_lo, v6, s2
	s_wait_alu 0xfffd
	s_delay_alu instid0(VALU_DEP_2)
	v_add_co_ci_u32_e32 v1, vcc_lo, s3, v7, vcc_lo
	s_clause 0x2
	global_load_b64 v[2:3], v[2:3], off
	global_load_b64 v[4:5], v[4:5], off
	;; [unrolled: 1-line block ×3, first 2 shown]
	v_add_co_u32 v10, vcc_lo, v0, s2
	s_wait_alu 0xfffd
	v_add_co_ci_u32_e32 v11, vcc_lo, s3, v1, vcc_lo
	global_load_b64 v[12:13], v[0:1], off
	v_add_co_u32 v0, vcc_lo, v10, s2
	s_wait_alu 0xfffd
	v_add_co_ci_u32_e32 v1, vcc_lo, s3, v11, vcc_lo
	global_load_b64 v[10:11], v[10:11], off
	;; [unrolled: 4-line block ×5, first 2 shown]
	s_clause 0x1
	global_load_b64 v[83:84], v108, s[8:9] offset:11648
	global_load_b64 v[85:86], v108, s[8:9] offset:13104
	global_load_b64 v[18:19], v[18:19], off
	v_add_nc_u32_e32 v27, 0xa00, v108
	v_add_nc_u32_e32 v0, 0x2000, v108
	s_load_b128 s[4:7], s[6:7], 0x0
	v_cmp_gt_u16_e32 vcc_lo, 0x8c, v26
	s_load_b64 s[2:3], s[0:1], 0x38
	s_wait_loadcnt 0xb
	v_mul_f32_e32 v22, v9, v92
	v_add_nc_u32_e32 v29, 0x2c00, v108
	v_mul_f32_e32 v23, v8, v92
	s_delay_alu instid0(VALU_DEP_3) | instskip(NEXT) | instid1(VALU_DEP_2)
	v_fmac_f32_e32 v22, v8, v91
	v_fma_f32 v23, v9, v91, -v23
	s_wait_loadcnt 0xa
	v_mul_f32_e32 v1, v3, v90
	v_mul_f32_e32 v24, v2, v90
	s_wait_loadcnt 0x9
	v_mul_f32_e32 v8, v5, v80
	v_mul_f32_e32 v9, v4, v80
	v_fmac_f32_e32 v1, v2, v89
	v_fma_f32 v2, v3, v89, -v24
	s_wait_loadcnt 0x8
	v_dual_fmac_f32 v8, v4, v79 :: v_dual_mul_f32 v3, v7, v82
	s_wait_loadcnt 0x7
	v_mul_f32_e32 v24, v13, v88
	v_dual_mul_f32 v4, v6, v82 :: v_dual_mul_f32 v25, v12, v88
	s_delay_alu instid0(VALU_DEP_2) | instskip(NEXT) | instid1(VALU_DEP_2)
	v_dual_fmac_f32 v3, v6, v81 :: v_dual_fmac_f32 v24, v12, v87
	v_fma_f32 v4, v7, v81, -v4
	s_wait_loadcnt 0x5
	v_dual_mul_f32 v6, v10, v76 :: v_dual_mul_f32 v7, v16, v78
	v_mul_f32_e32 v12, v17, v78
	v_fma_f32 v9, v5, v79, -v9
	v_mul_f32_e32 v5, v11, v76
	s_delay_alu instid0(VALU_DEP_4) | instskip(NEXT) | instid1(VALU_DEP_2)
	v_fma_f32 v6, v11, v75, -v6
	v_dual_fmac_f32 v12, v16, v77 :: v_dual_fmac_f32 v5, v10, v75
	s_wait_loadcnt 0x4
	v_mul_f32_e32 v10, v15, v74
	v_fma_f32 v25, v13, v87, -v25
	v_fma_f32 v13, v17, v77, -v7
	v_mul_f32_e32 v7, v14, v74
	s_wait_loadcnt 0x2
	v_dual_mul_f32 v17, v20, v84 :: v_dual_fmac_f32 v10, v14, v73
	v_mul_f32_e32 v14, v21, v84
	s_wait_loadcnt 0x0
	v_mul_f32_e32 v30, v18, v86
	v_fma_f32 v11, v15, v73, -v7
	v_fma_f32 v15, v21, v83, -v17
	v_mul_lo_u16 v21, v26, 10
	v_mul_f32_e32 v16, v19, v86
	v_fmac_f32_e32 v14, v20, v83
	v_fma_f32 v17, v19, v85, -v30
	s_delay_alu instid0(VALU_DEP_4) | instskip(NEXT) | instid1(VALU_DEP_4)
	v_and_b32_e32 v21, 0xffff, v21
	v_fmac_f32_e32 v16, v18, v85
	ds_store_2addr_b64 v108, v[22:23], v[1:2] offset1:182
	ds_store_2addr_b64 v27, v[8:9], v[3:4] offset0:44 offset1:226
	ds_store_2addr_b64 v28, v[24:25], v[5:6] offset0:24 offset1:206
	;; [unrolled: 1-line block ×4, first 2 shown]
	global_wb scope:SCOPE_SE
	s_wait_dscnt 0x0
	s_wait_kmcnt 0x0
	s_barrier_signal -1
	s_barrier_wait -1
	global_inv scope:SCOPE_SE
	ds_load_2addr_b64 v[1:4], v108 offset1:182
	ds_load_2addr_b64 v[5:8], v27 offset0:44 offset1:226
	ds_load_2addr_b64 v[9:12], v28 offset0:24 offset1:206
	;; [unrolled: 1-line block ×4, first 2 shown]
	v_lshlrev_b32_e32 v110, 3, v21
	global_wb scope:SCOPE_SE
	s_wait_dscnt 0x0
	s_barrier_signal -1
	s_barrier_wait -1
	global_inv scope:SCOPE_SE
	v_dual_add_f32 v30, v2, v6 :: v_dual_add_f32 v21, v1, v5
	v_add_f32_e32 v31, v10, v14
	v_add_f32_e32 v27, v5, v17
	v_dual_add_f32 v22, v9, v13 :: v_dual_sub_f32 v33, v6, v10
	v_sub_f32_e32 v23, v6, v18
	v_dual_sub_f32 v24, v10, v14 :: v_dual_sub_f32 v25, v5, v9
	v_dual_sub_f32 v26, v17, v13 :: v_dual_add_f32 v35, v6, v18
	v_dual_sub_f32 v28, v9, v5 :: v_dual_sub_f32 v39, v8, v20
	v_dual_sub_f32 v29, v13, v17 :: v_dual_sub_f32 v34, v18, v14
	;; [unrolled: 1-line block ×3, first 2 shown]
	v_dual_sub_f32 v36, v14, v18 :: v_dual_add_f32 v43, v7, v19
	v_add_f32_e32 v37, v3, v7
	v_dual_add_f32 v38, v11, v15 :: v_dual_add_f32 v47, v12, v16
	v_dual_sub_f32 v40, v12, v16 :: v_dual_sub_f32 v45, v15, v19
	v_dual_sub_f32 v44, v11, v7 :: v_dual_add_f32 v51, v8, v20
	v_add_f32_e32 v46, v4, v8
	v_add_f32_e32 v10, v30, v10
	v_dual_sub_f32 v32, v9, v13 :: v_dual_sub_f32 v41, v7, v11
	v_dual_sub_f32 v42, v19, v15 :: v_dual_sub_f32 v49, v8, v12
	v_sub_f32_e32 v7, v7, v19
	v_dual_sub_f32 v48, v11, v15 :: v_dual_add_f32 v9, v21, v9
	v_dual_sub_f32 v50, v20, v16 :: v_dual_add_f32 v11, v37, v11
	v_sub_f32_e32 v8, v12, v8
	v_fma_f32 v21, -0.5, v22, v1
	s_delay_alu instid0(VALU_DEP_4)
	v_add_f32_e32 v9, v9, v13
	v_dual_add_f32 v22, v25, v26 :: v_dual_add_f32 v25, v28, v29
	v_fma_f32 v1, -0.5, v27, v1
	v_fma_f32 v53, -0.5, v31, v2
	v_add_f32_e32 v26, v33, v34
	v_fma_f32 v2, -0.5, v35, v2
	v_fma_f32 v27, -0.5, v38, v3
	;; [unrolled: 1-line block ×3, first 2 shown]
	v_dual_add_f32 v29, v44, v45 :: v_dual_add_f32 v12, v46, v12
	s_delay_alu instid0(VALU_DEP_4)
	v_fmamk_f32 v35, v32, 0x3f737871, v2
	v_fma_f32 v33, -0.5, v47, v4
	v_fmac_f32_e32 v4, -0.5, v51
	v_add_f32_e32 v10, v10, v14
	v_add_f32_e32 v6, v6, v36
	v_dual_add_f32 v30, v49, v50 :: v_dual_add_f32 v11, v11, v15
	v_fmamk_f32 v14, v5, 0xbf737871, v53
	v_fmac_f32_e32 v53, 0x3f737871, v5
	v_fmamk_f32 v15, v39, 0x3f737871, v27
	v_fmamk_f32 v36, v40, 0xbf737871, v3
	v_fmac_f32_e32 v3, 0x3f737871, v40
	v_add_f32_e32 v12, v12, v16
	v_dual_fmamk_f32 v37, v48, 0x3f737871, v4 :: v_dual_add_f32 v10, v10, v18
	v_fmac_f32_e32 v2, 0xbf737871, v32
	v_dual_sub_f32 v52, v16, v20 :: v_dual_fmamk_f32 v13, v23, 0x3f737871, v21
	v_fmac_f32_e32 v21, 0xbf737871, v23
	v_dual_fmamk_f32 v34, v24, 0xbf737871, v1 :: v_dual_add_f32 v9, v9, v17
	v_fmamk_f32 v16, v7, 0xbf737871, v33
	v_fmac_f32_e32 v33, 0x3f737871, v7
	v_dual_fmac_f32 v53, 0x3f167918, v32 :: v_dual_fmac_f32 v2, 0x3f167918, v5
	v_fmac_f32_e32 v35, 0xbf167918, v5
	v_add_f32_e32 v5, v11, v19
	v_add_f32_e32 v11, v12, v20
	v_fmac_f32_e32 v16, 0xbf167918, v48
	v_dual_add_f32 v28, v41, v42 :: v_dual_fmac_f32 v1, 0x3f737871, v24
	v_dual_fmac_f32 v13, 0x3f167918, v24 :: v_dual_fmac_f32 v34, 0x3f167918, v23
	v_dual_fmac_f32 v21, 0xbf167918, v24 :: v_dual_add_f32 v24, v9, v5
	v_sub_f32_e32 v31, v10, v11
	v_dual_fmac_f32 v15, 0x3f167918, v40 :: v_dual_fmac_f32 v36, 0x3f167918, v39
	v_dual_add_f32 v8, v8, v52 :: v_dual_fmac_f32 v27, 0xbf737871, v39
	v_dual_fmac_f32 v1, 0xbf167918, v23 :: v_dual_fmac_f32 v14, 0xbf167918, v32
	v_dual_fmac_f32 v13, 0x3e9e377a, v22 :: v_dual_fmac_f32 v34, 0x3e9e377a, v25
	v_fmac_f32_e32 v37, 0xbf167918, v7
	v_dual_fmac_f32 v21, 0x3e9e377a, v22 :: v_dual_fmac_f32 v36, 0x3e9e377a, v29
	v_fmac_f32_e32 v27, 0xbf167918, v40
	v_fmac_f32_e32 v33, 0x3f167918, v48
	v_dual_fmac_f32 v1, 0x3e9e377a, v25 :: v_dual_fmac_f32 v14, 0x3e9e377a, v26
	v_dual_fmac_f32 v2, 0x3e9e377a, v6 :: v_dual_fmac_f32 v15, 0x3e9e377a, v28
	;; [unrolled: 1-line block ×3, first 2 shown]
	v_dual_add_f32 v25, v10, v11 :: v_dual_mul_f32 v10, 0xbf737871, v36
	v_fmac_f32_e32 v35, 0x3e9e377a, v6
	v_dual_fmac_f32 v33, 0x3e9e377a, v30 :: v_dual_sub_f32 v30, v9, v5
	s_delay_alu instid0(VALU_DEP_3) | instskip(SKIP_2) | instid1(VALU_DEP_2)
	v_dual_fmac_f32 v27, 0x3e9e377a, v28 :: v_dual_fmac_f32 v10, 0x3e9e377a, v37
	v_mul_f32_e32 v6, 0x3f737871, v37
	v_mul_f32_e32 v5, 0x3f4f1bbd, v15
                                        ; implicit-def: $vgpr44
	v_fmac_f32_e32 v6, 0x3e9e377a, v36
	v_mul_f32_e32 v9, 0xbf167918, v15
	s_delay_alu instid0(VALU_DEP_3) | instskip(SKIP_2) | instid1(VALU_DEP_4)
	v_fmac_f32_e32 v5, 0x3f167918, v16
	v_fmac_f32_e32 v3, 0xbf167918, v39
	v_add_f32_e32 v37, v35, v10
	v_dual_sub_f32 v42, v34, v6 :: v_dual_fmac_f32 v9, 0x3f4f1bbd, v16
	v_fmac_f32_e32 v4, 0xbf737871, v48
	v_sub_f32_e32 v40, v13, v5
	v_add_f32_e32 v36, v34, v6
	v_sub_f32_e32 v43, v35, v10
	s_delay_alu instid0(VALU_DEP_4) | instskip(SKIP_2) | instid1(VALU_DEP_3)
	v_dual_sub_f32 v41, v14, v9 :: v_dual_fmac_f32 v4, 0x3f167918, v7
	v_dual_fmac_f32 v53, 0x3e9e377a, v26 :: v_dual_add_f32 v26, v13, v5
	v_fmac_f32_e32 v3, 0x3e9e377a, v29
                                        ; implicit-def: $vgpr48
	v_fmac_f32_e32 v4, 0x3e9e377a, v8
	v_mul_f32_e32 v8, 0x3f4f1bbd, v27
	s_delay_alu instid0(VALU_DEP_3) | instskip(NEXT) | instid1(VALU_DEP_3)
	v_mul_f32_e32 v7, 0x3e9e377a, v3
	v_mul_f32_e32 v11, 0x3e9e377a, v4
	s_delay_alu instid0(VALU_DEP_2) | instskip(NEXT) | instid1(VALU_DEP_4)
	v_fma_f32 v4, 0x3f737871, v4, -v7
	v_fma_f32 v7, 0x3f167918, v33, -v8
	s_delay_alu instid0(VALU_DEP_2) | instskip(NEXT) | instid1(VALU_DEP_2)
	v_add_f32_e32 v38, v1, v4
	v_sub_f32_e32 v34, v21, v7
	v_add_f32_e32 v28, v21, v7
	v_mul_f32_e32 v12, 0x3f4f1bbd, v33
	v_fma_f32 v3, 0xbf737871, v3, -v11
	v_sub_f32_e32 v32, v1, v4
	s_delay_alu instid0(VALU_DEP_3) | instskip(SKIP_1) | instid1(VALU_DEP_4)
	v_fma_f32 v8, 0xbf167918, v27, -v12
	v_add_f32_e32 v27, v14, v9
	v_add_f32_e32 v39, v2, v3
	v_sub_f32_e32 v33, v2, v3
	s_delay_alu instid0(VALU_DEP_4)
	v_add_f32_e32 v29, v53, v8
	v_sub_f32_e32 v35, v53, v8
	ds_store_b128 v110, v[24:27]
	ds_store_b128 v110, v[36:39] offset:16
	ds_store_b128 v110, v[28:31] offset:32
	;; [unrolled: 1-line block ×4, first 2 shown]
	global_wb scope:SCOPE_SE
	s_wait_dscnt 0x0
	s_barrier_signal -1
	s_barrier_wait -1
	global_inv scope:SCOPE_SE
	s_and_saveexec_b32 s0, vcc_lo
	s_cbranch_execz .LBB0_3
; %bb.2:
	v_add_nc_u32_e32 v1, 0x800, v108
	v_add_nc_u32_e32 v2, 0x1000, v108
	;; [unrolled: 1-line block ×4, first 2 shown]
	ds_load_2addr_b64 v[24:27], v108 offset1:140
	ds_load_2addr_b64 v[36:39], v1 offset0:24 offset1:164
	ds_load_2addr_b64 v[28:31], v2 offset0:48 offset1:188
	;; [unrolled: 1-line block ×5, first 2 shown]
	ds_load_b64 v[48:49], v108 offset:13440
.LBB0_3:
	s_wait_alu 0xfffe
	s_or_b32 exec_lo, exec_lo, s0
	v_and_b32_e32 v0, 0xff, v107
	s_delay_alu instid0(VALU_DEP_1) | instskip(NEXT) | instid1(VALU_DEP_1)
	v_mul_lo_u16 v0, 0xcd, v0
	v_lshrrev_b16 v96, 11, v0
	s_delay_alu instid0(VALU_DEP_1) | instskip(NEXT) | instid1(VALU_DEP_1)
	v_mul_lo_u16 v0, v96, 10
	v_sub_nc_u16 v0, v107, v0
	s_delay_alu instid0(VALU_DEP_1) | instskip(NEXT) | instid1(VALU_DEP_1)
	v_and_b32_e32 v109, 0xff, v0
	v_mul_u32_u24_e32 v0, 12, v109
	s_delay_alu instid0(VALU_DEP_1)
	v_lshlrev_b32_e32 v0, 3, v0
	s_clause 0x5
	global_load_b128 v[20:23], v0, s[10:11]
	global_load_b128 v[16:19], v0, s[10:11] offset:16
	global_load_b128 v[8:11], v0, s[10:11] offset:32
	;; [unrolled: 1-line block ×5, first 2 shown]
	global_wb scope:SCOPE_SE
	s_wait_loadcnt_dscnt 0x0
	s_barrier_signal -1
	s_barrier_wait -1
	global_inv scope:SCOPE_SE
	v_dual_mul_f32 v51, v37, v23 :: v_dual_mul_f32 v50, v27, v21
	v_dual_mul_f32 v71, v26, v21 :: v_dual_mul_f32 v70, v36, v23
	v_mul_f32_e32 v69, v38, v17
	v_dual_mul_f32 v52, v39, v17 :: v_dual_mul_f32 v53, v29, v19
	v_dual_mul_f32 v62, v44, v15 :: v_dual_mul_f32 v97, v47, v1
	;; [unrolled: 1-line block ×3, first 2 shown]
	v_dual_mul_f32 v60, v48, v3 :: v_dual_fmac_f32 v71, v27, v20
	v_dual_mul_f32 v68, v28, v19 :: v_dual_mul_f32 v67, v30, v9
	v_dual_mul_f32 v66, v40, v11 :: v_dual_mul_f32 v65, v42, v5
	;; [unrolled: 1-line block ×3, first 2 shown]
	v_fma_f32 v95, v26, v20, -v50
	v_fma_f32 v94, v36, v22, -v51
	v_dual_fmac_f32 v70, v37, v22 :: v_dual_fmac_f32 v69, v39, v16
	v_fma_f32 v93, v38, v16, -v52
	v_fma_f32 v38, v28, v18, -v53
	;; [unrolled: 1-line block ×3, first 2 shown]
	v_dual_fmac_f32 v60, v49, v2 :: v_dual_fmac_f32 v63, v47, v0
	v_fmac_f32_e32 v62, v45, v14
	v_fma_f32 v28, v46, v0, -v97
	v_dual_mul_f32 v64, v32, v7 :: v_dual_mul_f32 v61, v34, v13
	v_dual_fmac_f32 v68, v29, v18 :: v_dual_fmac_f32 v67, v31, v8
	v_dual_fmac_f32 v66, v41, v10 :: v_dual_fmac_f32 v65, v43, v4
	v_fma_f32 v29, v34, v12, -v58
	v_fma_f32 v27, v44, v14, -v59
	v_dual_sub_f32 v48, v95, v26 :: v_dual_add_f32 v113, v94, v28
	v_sub_f32_e32 v49, v71, v60
	s_delay_alu instid0(VALU_DEP_3)
	v_dual_sub_f32 v50, v94, v28 :: v_dual_add_f32 v117, v93, v27
	v_dual_sub_f32 v53, v69, v62 :: v_dual_add_f32 v124, v38, v29
	v_dual_mul_f32 v54, v31, v9 :: v_dual_mul_f32 v55, v41, v11
	v_dual_mul_f32 v56, v43, v5 :: v_dual_mul_f32 v57, v33, v7
	v_dual_fmac_f32 v64, v33, v6 :: v_dual_fmac_f32 v61, v35, v12
	v_dual_add_f32 v99, v95, v26 :: v_dual_add_f32 v114, v70, v63
	v_dual_add_f32 v100, v71, v60 :: v_dual_sub_f32 v51, v70, v63
	v_sub_f32_e32 v52, v93, v27
	v_sub_f32_e32 v58, v66, v65
	v_mul_f32_e32 v46, 0xbeedf032, v48
	v_dual_mul_f32 v45, 0xbf52af12, v50 :: v_dual_mul_f32 v102, 0xbf52af12, v49
	v_dual_mul_f32 v116, 0xbf52af12, v48 :: v_dual_mul_f32 v153, 0xbf52af12, v53
	v_fma_f32 v37, v30, v8, -v54
	v_fma_f32 v36, v40, v10, -v55
	;; [unrolled: 1-line block ×4, first 2 shown]
	v_sub_f32_e32 v54, v38, v29
	v_sub_f32_e32 v55, v68, v61
	v_mul_f32_e32 v43, 0xbf52af12, v51
	v_dual_mul_f32 v101, 0xbf6f5d39, v51 :: v_dual_mul_f32 v142, 0xbf6f5d39, v49
	v_dual_mul_f32 v115, 0xbf6f5d39, v50 :: v_dual_mul_f32 v148, 0xbf6f5d39, v48
	;; [unrolled: 1-line block ×5, first 2 shown]
	v_dual_fmamk_f32 v111, v99, 0x3f116cb1, v102 :: v_dual_fmamk_f32 v212, v117, 0x3f116cb1, v153
	v_mul_f32_e32 v44, 0xbeedf032, v49
	v_fma_f32 v49, 0x3f62ad3f, v100, -v46
	v_fma_f32 v174, 0x3f116cb1, v100, -v116
	s_delay_alu instid0(VALU_DEP_4)
	v_dual_add_f32 v111, v24, v111 :: v_dual_add_f32 v118, v69, v62
	v_add_f32_e32 v125, v68, v61
	v_dual_add_f32 v127, v37, v30 :: v_dual_add_f32 v128, v67, v64
	v_dual_sub_f32 v59, v36, v31 :: v_dual_sub_f32 v56, v37, v30
	v_dual_sub_f32 v57, v67, v64 :: v_dual_mul_f32 v106, 0x3f29c268, v54
	v_mul_f32_e32 v141, 0x3f29c268, v51
	v_dual_mul_f32 v123, 0xbe750f2a, v51 :: v_dual_mul_f32 v172, 0xbe750f2a, v48
	v_dual_mul_f32 v138, 0x3eedf032, v53 :: v_dual_mul_f32 v165, 0x3eedf032, v51
	v_dual_mul_f32 v151, 0x3f7e222b, v51 :: v_dual_add_f32 v174, v25, v174
	v_fma_f32 v51, 0x3f116cb1, v114, -v45
	v_fma_f32 v175, 0xbeb58ec6, v114, -v115
	v_add_f32_e32 v49, v25, v49
	v_dual_mul_f32 v41, 0xbf7e222b, v53 :: v_dual_mul_f32 v42, 0xbf7e222b, v52
	v_dual_mul_f32 v35, 0xbf6f5d39, v55 :: v_dual_mul_f32 v40, 0xbf6f5d39, v54
	;; [unrolled: 1-line block ×3, first 2 shown]
	s_delay_alu instid0(VALU_DEP_4)
	v_dual_mul_f32 v146, 0x3eedf032, v52 :: v_dual_add_f32 v49, v51, v49
	v_dual_mul_f32 v144, 0x3e750f2a, v56 :: v_dual_add_f32 v51, v175, v174
	v_fma_f32 v177, 0xbf788fa5, v118, -v105
	v_dual_add_f32 v130, v36, v31 :: v_dual_add_f32 v137, v66, v65
	v_dual_mul_f32 v32, 0xbe750f2a, v58 :: v_dual_mul_f32 v33, 0xbe750f2a, v59
	v_dual_mul_f32 v103, 0xbe750f2a, v53 :: v_dual_mul_f32 v132, 0xbe750f2a, v50
	v_dual_mul_f32 v104, 0x3f29c268, v55 :: v_dual_mul_f32 v147, 0x3f29c268, v50
	v_dual_mul_f32 v97, 0x3f7e222b, v57 :: v_dual_mul_f32 v112, 0x3f7e222b, v56
	v_dual_mul_f32 v122, 0x3f6f5d39, v53 :: v_dual_mul_f32 v133, 0x3f6f5d39, v52
	v_dual_mul_f32 v119, 0x3eedf032, v55 :: v_dual_mul_f32 v134, 0x3eedf032, v54
	v_dual_mul_f32 v140, 0x3e750f2a, v57 :: v_dual_mul_f32 v157, 0x3e750f2a, v54
	v_dual_mul_f32 v136, 0x3f52af12, v58 :: v_dual_mul_f32 v145, 0x3f52af12, v59
	v_dual_mul_f32 v162, 0xbf29c268, v53 :: v_dual_mul_f32 v169, 0xbf29c268, v52
	v_dual_mul_f32 v163, 0x3f52af12, v55 :: v_dual_mul_f32 v170, 0x3f52af12, v54
	v_dual_fmamk_f32 v48, v99, 0x3f62ad3f, v44 :: v_dual_fmamk_f32 v221, v113, 0x3f62ad3f, v165
	v_fma_f32 v53, 0x3df6dbef, v118, -v42
	v_mul_f32_e32 v168, 0x3eedf032, v50
	v_dual_fmamk_f32 v173, v113, 0xbeb58ec6, v101 :: v_dual_fmamk_f32 v196, v99, 0xbeb58ec6, v142
	v_mul_f32_e32 v159, 0x3f7e222b, v50
	v_fma_f32 v179, 0xbf3f9e67, v125, -v106
	v_dual_fmamk_f32 v184, v99, 0x3df6dbef, v126 :: v_dual_fmamk_f32 v209, v113, 0x3df6dbef, v151
	v_mul_f32_e32 v143, 0xbf7e222b, v54
	v_dual_fmamk_f32 v54, v124, 0xbeb58ec6, v35 :: v_dual_add_f32 v51, v177, v51
	v_fma_f32 v186, 0x3df6dbef, v100, -v135
	v_fma_f32 v198, 0xbeb58ec6, v100, -v148
	;; [unrolled: 1-line block ×4, first 2 shown]
	v_dual_mul_f32 v47, 0x3eedf032, v58 :: v_dual_mul_f32 v98, 0x3eedf032, v59
	v_dual_mul_f32 v139, 0xbf7e222b, v55 :: v_dual_add_f32 v48, v24, v48
	v_dual_mul_f32 v149, 0xbf6f5d39, v58 :: v_dual_mul_f32 v164, 0xbf6f5d39, v57
	v_dual_mul_f32 v155, 0xbf6f5d39, v59 :: v_dual_add_f32 v186, v25, v186
	v_dual_mul_f32 v171, 0xbf6f5d39, v56 :: v_dual_add_f32 v198, v25, v198
	;; [unrolled: 1-line block ×3, first 2 shown]
	v_fma_f32 v181, 0x3df6dbef, v128, -v112
	v_fmamk_f32 v185, v113, 0xbf788fa5, v123
	v_fma_f32 v187, 0xbf788fa5, v114, -v132
	v_mul_f32_e32 v156, 0xbf52af12, v52
	v_dual_fmamk_f32 v188, v117, 0xbeb58ec6, v122 :: v_dual_add_f32 v51, v179, v51
	v_fma_f32 v199, 0xbf3f9e67, v114, -v147
	v_fma_f32 v207, 0x3f116cb1, v137, -v145
	v_fmamk_f32 v208, v99, 0xbf3f9e67, v152
	v_mul_f32_e32 v161, 0x3f7e222b, v58
	v_fmamk_f32 v58, v130, 0xbf788fa5, v32
	v_add_f32_e32 v184, v24, v184
	v_add_f32_e32 v196, v24, v196
	v_fma_f32 v211, 0x3df6dbef, v114, -v159
	v_add_f32_e32 v222, v25, v222
	v_add_f32_e32 v49, v53, v49
	v_fma_f32 v223, 0x3f62ad3f, v114, -v168
	v_fmamk_f32 v50, v113, 0x3f116cb1, v43
	v_mul_f32_e32 v154, 0x3e750f2a, v55
	v_dual_mul_f32 v150, 0x3eedf032, v57 :: v_dual_add_f32 v175, v199, v198
	v_mul_f32_e32 v158, 0x3eedf032, v56
	v_fma_f32 v189, 0xbeb58ec6, v118, -v133
	v_fma_f32 v201, 0x3f62ad3f, v118, -v146
	v_fma_f32 v219, 0xbeb58ec6, v137, -v155
	v_fma_f32 v225, 0xbf3f9e67, v118, -v169
	v_add_f32_e32 v48, v50, v48
	v_add_f32_e32 v50, v173, v111
	v_add_f32_e32 v111, v185, v184
	v_add_f32_e32 v173, v187, v186
	v_fma_f32 v213, 0x3f116cb1, v118, -v156
	v_add_f32_e32 v185, v211, v210
	v_dual_add_f32 v187, v223, v222 :: v_dual_mul_f32 v34, 0xbf29c268, v57
	v_mul_f32_e32 v39, 0xbf29c268, v56
	v_dual_mul_f32 v120, 0xbf52af12, v57 :: v_dual_mul_f32 v131, 0xbf52af12, v56
	v_fma_f32 v55, 0xbeb58ec6, v125, -v40
	v_dual_fmamk_f32 v178, v124, 0xbf3f9e67, v104 :: v_dual_add_f32 v53, v189, v173
	v_dual_fmamk_f32 v180, v127, 0x3df6dbef, v97 :: v_dual_add_f32 v173, v201, v175
	;; [unrolled: 1-line block ×4, first 2 shown]
	v_fma_f32 v191, 0x3f62ad3f, v125, -v134
	v_fma_f32 v203, 0x3df6dbef, v125, -v143
	;; [unrolled: 1-line block ×5, first 2 shown]
	v_dual_fmamk_f32 v176, v117, 0xbf788fa5, v103 :: v_dual_add_f32 v49, v55, v49
	v_fma_f32 v193, 0x3f116cb1, v128, -v131
	v_dual_fmamk_f32 v194, v130, 0xbf3f9e67, v121 :: v_dual_add_f32 v53, v191, v53
	v_dual_fmamk_f32 v200, v117, 0x3f62ad3f, v138 :: v_dual_add_f32 v55, v203, v173
	;; [unrolled: 1-line block ×4, first 2 shown]
	v_fma_f32 v217, 0x3f62ad3f, v128, -v158
	v_fmamk_f32 v220, v99, 0xbf788fa5, v166
	v_fma_f32 v229, 0xbeb58ec6, v128, -v171
	v_dual_fmamk_f32 v56, v127, 0xbf3f9e67, v34 :: v_dual_fmamk_f32 v197, v113, 0xbf3f9e67, v141
	v_fma_f32 v59, 0xbf788fa5, v137, -v33
	v_fma_f32 v195, 0xbf3f9e67, v137, -v129
	v_dual_fmamk_f32 v204, v127, 0xbf788fa5, v140 :: v_dual_add_f32 v49, v57, v49
	v_fma_f32 v205, 0xbf788fa5, v128, -v144
	v_dual_fmamk_f32 v214, v124, 0xbf788fa5, v154 :: v_dual_add_f32 v177, v193, v53
	v_dual_fmamk_f32 v226, v124, 0x3f116cb1, v163 :: v_dual_add_f32 v175, v229, v175
	v_fma_f32 v231, 0x3df6dbef, v137, -v167
	v_dual_add_f32 v57, v181, v51 :: v_dual_add_f32 v208, v24, v208
	v_dual_add_f32 v173, v217, v173 :: v_dual_add_f32 v220, v24, v220
	v_dual_fmamk_f32 v216, v127, 0x3f62ad3f, v150 :: v_dual_add_f32 v179, v205, v55
	v_dual_fmamk_f32 v224, v117, 0xbf3f9e67, v162 :: v_dual_add_f32 v51, v59, v49
	v_dual_add_f32 v174, v197, v196 :: v_dual_add_f32 v49, v231, v175
	v_fmamk_f32 v52, v117, 0x3df6dbef, v41
	v_dual_add_f32 v184, v209, v208 :: v_dual_add_f32 v55, v195, v177
	v_add_f32_e32 v186, v221, v220
	v_dual_add_f32 v50, v176, v50 :: v_dual_add_f32 v59, v219, v173
	s_delay_alu instid0(VALU_DEP_4)
	v_add_f32_e32 v48, v52, v48
	v_add_f32_e32 v52, v188, v111
	;; [unrolled: 1-line block ×5, first 2 shown]
	v_fmamk_f32 v192, v127, 0x3f116cb1, v120
	v_fmamk_f32 v228, v127, 0xbeb58ec6, v164
	v_add_f32_e32 v48, v54, v48
	v_add_f32_e32 v50, v178, v50
	;; [unrolled: 1-line block ×6, first 2 shown]
	v_fma_f32 v183, 0x3f62ad3f, v137, -v98
	v_fmamk_f32 v218, v130, 0xbeb58ec6, v149
	v_fmamk_f32 v230, v130, 0x3df6dbef, v161
	v_add_f32_e32 v48, v56, v48
	s_delay_alu instid0(VALU_DEP_4)
	v_dual_add_f32 v56, v180, v50 :: v_dual_add_f32 v53, v183, v57
	v_add_f32_e32 v176, v192, v52
	v_add_f32_e32 v178, v204, v54
	;; [unrolled: 1-line block ×7, first 2 shown]
	v_dual_add_f32 v56, v206, v178 :: v_dual_add_f32 v57, v207, v179
	v_add_f32_e32 v58, v218, v111
	v_dual_add_f32 v48, v230, v174 :: v_dual_and_b32 v111, 0xffff, v96
	s_and_saveexec_b32 s0, vcc_lo
	s_cbranch_execz .LBB0_5
; %bb.4:
	v_dual_mul_f32 v173, 0x3f62ad3f, v99 :: v_dual_mul_f32 v174, 0x3f62ad3f, v100
	v_dual_mul_f32 v175, 0x3f116cb1, v99 :: v_dual_mul_f32 v176, 0x3f116cb1, v100
	;; [unrolled: 1-line block ×12, first 2 shown]
	v_dual_add_f32 v100, v172, v100 :: v_dual_mul_f32 v219, 0x3f62ad3f, v127
	v_dual_mul_f32 v192, 0x3df6dbef, v117 :: v_dual_mul_f32 v193, 0x3df6dbef, v118
	v_dual_mul_f32 v194, 0xbf788fa5, v117 :: v_dual_mul_f32 v195, 0xbf788fa5, v118
	;; [unrolled: 1-line block ×6, first 2 shown]
	v_dual_mul_f32 v218, 0xbf788fa5, v128 :: v_dual_sub_f32 v99, v99, v166
	v_add_f32_e32 v100, v25, v100
	v_dual_add_f32 v114, v168, v114 :: v_dual_mul_f32 v223, 0xbf3f9e67, v137
	v_dual_mul_f32 v212, 0xbf3f9e67, v127 :: v_dual_mul_f32 v213, 0xbf3f9e67, v128
	v_dual_mul_f32 v214, 0x3df6dbef, v127 :: v_dual_mul_f32 v215, 0x3df6dbef, v128
	;; [unrolled: 1-line block ×4, first 2 shown]
	v_mul_f32_e32 v127, 0xbeb58ec6, v127
	v_dual_mul_f32 v168, 0xbf788fa5, v130 :: v_dual_add_f32 v99, v24, v99
	v_add_f32_e32 v100, v114, v100
	v_add_f32_e32 v114, v169, v118
	v_dual_mul_f32 v118, 0x3f62ad3f, v130 :: v_dual_sub_f32 v113, v113, v165
	v_dual_mul_f32 v202, 0xbeb58ec6, v124 :: v_dual_mul_f32 v203, 0xbeb58ec6, v125
	v_dual_mul_f32 v204, 0xbf3f9e67, v124 :: v_dual_mul_f32 v205, 0xbf3f9e67, v125
	;; [unrolled: 1-line block ×6, first 2 shown]
	v_dual_mul_f32 v222, 0xbf3f9e67, v130 :: v_dual_add_f32 v99, v113, v99
	v_dual_add_f32 v100, v114, v100 :: v_dual_sub_f32 v113, v117, v162
	v_dual_mul_f32 v220, 0x3f62ad3f, v128 :: v_dual_mul_f32 v169, 0x3f62ad3f, v137
	v_dual_mul_f32 v128, 0xbeb58ec6, v128 :: v_dual_mul_f32 v225, 0xbeb58ec6, v137
	s_delay_alu instid0(VALU_DEP_3) | instskip(SKIP_2) | instid1(VALU_DEP_3)
	v_dual_add_f32 v114, v170, v125 :: v_dual_add_f32 v99, v113, v99
	v_dual_mul_f32 v170, 0x3f116cb1, v137 :: v_dual_sub_f32 v113, v124, v163
	v_dual_mul_f32 v224, 0xbeb58ec6, v130 :: v_dual_add_f32 v117, v156, v201
	v_add_f32_e32 v100, v114, v100
	s_delay_alu instid0(VALU_DEP_3) | instskip(SKIP_2) | instid1(VALU_DEP_3)
	v_dual_add_f32 v114, v171, v128 :: v_dual_add_f32 v99, v113, v99
	v_dual_mul_f32 v128, 0x3df6dbef, v137 :: v_dual_sub_f32 v113, v127, v164
	v_add_f32_e32 v96, v160, v96
	v_dual_add_f32 v100, v114, v100 :: v_dual_add_f32 v137, v159, v191
	v_add_f32_e32 v135, v135, v178
	s_delay_alu instid0(VALU_DEP_4) | instskip(SKIP_4) | instid1(VALU_DEP_3)
	v_add_f32_e32 v127, v113, v99
	v_add_f32_e32 v99, v148, v180
	;; [unrolled: 1-line block ×4, first 2 shown]
	v_dual_sub_f32 v124, v200, v153 :: v_dual_add_f32 v135, v25, v135
	v_dual_add_f32 v99, v25, v99 :: v_dual_add_f32 v96, v114, v100
	v_sub_f32_e32 v100, v181, v152
	s_delay_alu instid0(VALU_DEP_4) | instskip(SKIP_2) | instid1(VALU_DEP_4)
	v_add_f32_e32 v114, v137, v128
	v_sub_f32_e32 v128, v190, v151
	v_dual_sub_f32 v126, v177, v126 :: v_dual_sub_f32 v101, v184, v101
	v_add_f32_e32 v100, v24, v100
	s_delay_alu instid0(VALU_DEP_4)
	v_add_f32_e32 v114, v117, v114
	v_add_f32_e32 v117, v157, v211
	v_mul_f32_e32 v125, 0x3f116cb1, v130
	v_mul_f32_e32 v130, 0x3df6dbef, v130
	v_add_f32_e32 v100, v128, v100
	v_dual_add_f32 v126, v24, v126 :: v_dual_add_f32 v105, v105, v195
	v_dual_add_f32 v114, v117, v114 :: v_dual_add_f32 v117, v158, v220
	s_delay_alu instid0(VALU_DEP_3) | instskip(SKIP_1) | instid1(VALU_DEP_3)
	v_add_f32_e32 v100, v124, v100
	v_dual_sub_f32 v124, v210, v154 :: v_dual_add_f32 v133, v133, v197
	v_dual_add_f32 v132, v132, v187 :: v_dual_add_f32 v113, v117, v114
	s_delay_alu instid0(VALU_DEP_2) | instskip(SKIP_1) | instid1(VALU_DEP_3)
	v_dual_add_f32 v114, v155, v225 :: v_dual_add_f32 v117, v124, v100
	v_sub_f32_e32 v124, v219, v150
	v_dual_sub_f32 v137, v179, v142 :: v_dual_add_f32 v132, v132, v135
	v_dual_add_f32 v128, v147, v189 :: v_dual_add_f32 v135, v145, v170
	s_delay_alu instid0(VALU_DEP_4) | instskip(NEXT) | instid1(VALU_DEP_3)
	v_dual_add_f32 v100, v114, v113 :: v_dual_sub_f32 v125, v125, v136
	v_dual_add_f32 v132, v133, v132 :: v_dual_add_f32 v133, v134, v207
	v_add_f32_e32 v113, v124, v117
	v_add_f32_e32 v117, v24, v137
	v_dual_sub_f32 v124, v188, v141 :: v_dual_sub_f32 v123, v186, v123
	v_dual_sub_f32 v102, v175, v102 :: v_dual_add_f32 v99, v128, v99
	v_sub_f32_e32 v128, v224, v149
	s_delay_alu instid0(VALU_DEP_3) | instskip(NEXT) | instid1(VALU_DEP_4)
	v_add_f32_e32 v117, v124, v117
	v_add_f32_e32 v123, v123, v126
	v_sub_f32_e32 v124, v198, v138
	v_dual_add_f32 v116, v116, v176 :: v_dual_add_f32 v71, v25, v71
	v_dual_add_f32 v102, v24, v102 :: v_dual_add_f32 v45, v45, v183
	s_delay_alu instid0(VALU_DEP_3) | instskip(SKIP_1) | instid1(VALU_DEP_4)
	v_add_f32_e32 v117, v124, v117
	v_sub_f32_e32 v124, v208, v139
	v_add_f32_e32 v116, v25, v116
	v_dual_add_f32 v126, v115, v185 :: v_dual_sub_f32 v47, v118, v47
	v_dual_add_f32 v101, v101, v102 :: v_dual_add_f32 v114, v146, v199
	s_delay_alu instid0(VALU_DEP_4) | instskip(NEXT) | instid1(VALU_DEP_3)
	v_dual_add_f32 v117, v124, v117 :: v_dual_add_f32 v46, v46, v174
	v_add_f32_e32 v116, v126, v116
	v_sub_f32_e32 v119, v206, v119
	s_delay_alu instid0(VALU_DEP_4) | instskip(NEXT) | instid1(VALU_DEP_4)
	v_dual_add_f32 v99, v114, v99 :: v_dual_add_f32 v114, v143, v209
	v_dual_add_f32 v106, v106, v205 :: v_dual_add_f32 v25, v25, v46
	s_delay_alu instid0(VALU_DEP_4) | instskip(NEXT) | instid1(VALU_DEP_3)
	v_dual_add_f32 v105, v105, v116 :: v_dual_sub_f32 v102, v194, v103
	v_dual_add_f32 v99, v114, v99 :: v_dual_add_f32 v114, v144, v218
	s_delay_alu instid0(VALU_DEP_3) | instskip(NEXT) | instid1(VALU_DEP_3)
	v_add_f32_e32 v25, v45, v25
	v_dual_add_f32 v105, v106, v105 :: v_dual_sub_f32 v124, v172, v140
	s_delay_alu instid0(VALU_DEP_4) | instskip(NEXT) | instid1(VALU_DEP_4)
	v_add_f32_e32 v101, v102, v101
	v_dual_add_f32 v114, v114, v99 :: v_dual_add_f32 v99, v128, v113
	v_add_f32_e32 v95, v24, v95
	s_delay_alu instid0(VALU_DEP_4) | instskip(NEXT) | instid1(VALU_DEP_3)
	v_add_f32_e32 v117, v124, v117
	v_dual_sub_f32 v130, v130, v161 :: v_dual_add_f32 v113, v135, v114
	v_add_f32_e32 v114, v133, v132
	v_add_f32_e32 v124, v131, v217
	v_dual_sub_f32 v102, v204, v104 :: v_dual_add_f32 v71, v71, v70
	v_add_f32_e32 v94, v95, v94
	v_dual_sub_f32 v122, v196, v122 :: v_dual_sub_f32 v95, v214, v97
	s_delay_alu instid0(VALU_DEP_3) | instskip(NEXT) | instid1(VALU_DEP_4)
	v_dual_add_f32 v114, v124, v114 :: v_dual_add_f32 v101, v102, v101
	v_dual_add_f32 v124, v129, v223 :: v_dual_add_f32 v69, v71, v69
	s_delay_alu instid0(VALU_DEP_4) | instskip(NEXT) | instid1(VALU_DEP_3)
	v_dual_add_f32 v71, v94, v93 :: v_dual_sub_f32 v44, v173, v44
	v_add_f32_e32 v93, v95, v101
	s_delay_alu instid0(VALU_DEP_3) | instskip(NEXT) | instid1(VALU_DEP_3)
	v_dual_add_f32 v115, v124, v114 :: v_dual_add_f32 v114, v122, v123
	v_add_f32_e32 v38, v71, v38
	s_delay_alu instid0(VALU_DEP_3) | instskip(NEXT) | instid1(VALU_DEP_3)
	v_dual_add_f32 v68, v69, v68 :: v_dual_add_f32 v69, v47, v93
	v_dual_add_f32 v95, v130, v127 :: v_dual_add_f32 v114, v119, v114
	s_delay_alu instid0(VALU_DEP_3) | instskip(SKIP_1) | instid1(VALU_DEP_2)
	v_dual_add_f32 v37, v38, v37 :: v_dual_add_f32 v24, v24, v44
	v_sub_f32_e32 v119, v216, v120
	v_dual_add_f32 v36, v37, v36 :: v_dual_add_f32 v37, v42, v193
	s_delay_alu instid0(VALU_DEP_2) | instskip(NEXT) | instid1(VALU_DEP_2)
	v_add_f32_e32 v103, v119, v114
	v_add_f32_e32 v31, v36, v31
	s_delay_alu instid0(VALU_DEP_3) | instskip(NEXT) | instid1(VALU_DEP_2)
	v_dual_add_f32 v25, v37, v25 :: v_dual_add_f32 v36, v40, v203
	v_dual_add_f32 v30, v31, v30 :: v_dual_sub_f32 v31, v202, v35
	v_add_f32_e32 v46, v68, v67
	s_delay_alu instid0(VALU_DEP_3) | instskip(SKIP_1) | instid1(VALU_DEP_4)
	v_add_f32_e32 v25, v36, v25
	v_add_f32_e32 v35, v39, v213
	v_add_f32_e32 v29, v30, v29
	v_add_f32_e32 v98, v98, v169
	s_delay_alu instid0(VALU_DEP_3) | instskip(NEXT) | instid1(VALU_DEP_3)
	v_dual_sub_f32 v30, v212, v34 :: v_dual_add_f32 v25, v35, v25
	v_add_f32_e32 v27, v29, v27
	v_dual_add_f32 v29, v33, v221 :: v_dual_add_f32 v106, v112, v215
	v_sub_f32_e32 v38, v182, v43
	s_delay_alu instid0(VALU_DEP_3) | instskip(NEXT) | instid1(VALU_DEP_3)
	v_dual_add_f32 v43, v46, v66 :: v_dual_add_f32 v28, v27, v28
	v_add_f32_e32 v25, v29, v25
	v_add_f32_e32 v112, v125, v117
	s_delay_alu instid0(VALU_DEP_4) | instskip(SKIP_4) | instid1(VALU_DEP_4)
	v_add_f32_e32 v24, v38, v24
	v_sub_f32_e32 v38, v192, v41
	v_add_f32_e32 v41, v43, v65
	v_sub_f32_e32 v114, v222, v121
	v_add_f32_e32 v26, v28, v26
	v_add_f32_e32 v24, v38, v24
	s_delay_alu instid0(VALU_DEP_3) | instskip(NEXT) | instid1(VALU_DEP_2)
	v_dual_add_f32 v37, v41, v64 :: v_dual_add_f32 v114, v114, v103
	v_add_f32_e32 v24, v31, v24
	s_delay_alu instid0(VALU_DEP_2) | instskip(SKIP_1) | instid1(VALU_DEP_2)
	v_add_f32_e32 v36, v37, v61
	v_add_f32_e32 v104, v106, v105
	v_dual_add_f32 v24, v30, v24 :: v_dual_add_f32 v31, v36, v62
	s_delay_alu instid0(VALU_DEP_2) | instskip(SKIP_2) | instid1(VALU_DEP_2)
	v_add_f32_e32 v70, v98, v104
	v_sub_f32_e32 v30, v168, v32
	v_mul_u32_u24_e32 v32, 0x82, v111
	v_dual_add_f32 v31, v31, v63 :: v_dual_add_f32 v24, v30, v24
	s_delay_alu instid0(VALU_DEP_2) | instskip(NEXT) | instid1(VALU_DEP_2)
	v_add_lshl_u32 v28, v32, v109, 3
	v_add_f32_e32 v27, v31, v60
	ds_store_2addr_b64 v28, v[26:27], v[24:25] offset1:10
	ds_store_2addr_b64 v28, v[69:70], v[114:115] offset0:20 offset1:30
	ds_store_2addr_b64 v28, v[112:113], v[99:100] offset0:40 offset1:50
	;; [unrolled: 1-line block ×5, first 2 shown]
	ds_store_b64 v28, v[50:51] offset:960
.LBB0_5:
	s_wait_alu 0xfffe
	s_or_b32 exec_lo, exec_lo, s0
	global_wb scope:SCOPE_SE
	s_wait_dscnt 0x0
	s_barrier_signal -1
	s_barrier_wait -1
	global_inv scope:SCOPE_SE
	ds_load_b64 v[62:63], v108
	ds_load_b64 v[97:98], v108 offset:2080
	ds_load_b64 v[95:96], v108 offset:4160
	;; [unrolled: 1-line block ×6, first 2 shown]
	v_add_co_u32 v60, s0, s8, v108
	s_wait_alu 0xf1ff
	v_add_co_ci_u32_e64 v61, null, s9, 0, s0
	v_cmp_gt_u16_e64 s0, 0x4e, v107
                                        ; implicit-def: $vgpr64
	s_delay_alu instid0(VALU_DEP_1)
	s_and_saveexec_b32 s1, s0
	s_cbranch_execz .LBB0_7
; %bb.6:
	ds_load_b64 v[48:49], v108 offset:1456
	ds_load_b64 v[58:59], v108 offset:3536
	;; [unrolled: 1-line block ×7, first 2 shown]
.LBB0_7:
	s_wait_alu 0xfffe
	s_or_b32 exec_lo, exec_lo, s1
	v_add_nc_u32_e32 v24, 0xffffff7e, v107
	v_cmp_gt_u16_e64 s1, 0x82, v107
	s_wait_alu 0xf1ff
	s_delay_alu instid0(VALU_DEP_1) | instskip(NEXT) | instid1(VALU_DEP_1)
	v_cndmask_b32_e64 v99, v24, v107, s1
	v_mul_i32_i24_e32 v24, 48, v99
	v_mul_hi_i32_i24_e32 v25, 48, v99
	s_delay_alu instid0(VALU_DEP_2) | instskip(SKIP_1) | instid1(VALU_DEP_2)
	v_add_co_u32 v24, s1, s10, v24
	s_wait_alu 0xf1ff
	v_add_co_ci_u32_e64 v25, s1, s11, v25, s1
	s_clause 0x2
	global_load_b128 v[44:47], v[24:25], off offset:960
	global_load_b128 v[40:43], v[24:25], off offset:976
	;; [unrolled: 1-line block ×3, first 2 shown]
	s_wait_loadcnt_dscnt 0x205
	v_dual_mul_f32 v103, v97, v45 :: v_dual_add_nc_u32 v24, 0xb6, v107
	s_wait_loadcnt_dscnt 0x103
	v_mul_f32_e32 v113, v70, v41
	s_delay_alu instid0(VALU_DEP_2) | instskip(SKIP_3) | instid1(VALU_DEP_3)
	v_dual_mul_f32 v102, v98, v45 :: v_dual_and_b32 v25, 0xffff, v24
	s_wait_loadcnt_dscnt 0x1
	v_dual_mul_f32 v114, v69, v43 :: v_dual_mul_f32 v117, v66, v37
	v_dual_mul_f32 v115, v68, v43 :: v_dual_mul_f32 v116, v67, v37
	v_mul_u32_u24_e32 v25, 0xfc1, v25
	v_fma_f32 v97, v97, v44, -v102
	s_delay_alu instid0(VALU_DEP_4)
	v_fma_f32 v68, v68, v42, -v114
	v_fmac_f32_e32 v117, v67, v36
	v_fma_f32 v66, v66, v36, -v116
	v_lshrrev_b32_e32 v25, 19, v25
	v_mul_f32_e32 v105, v95, v47
	s_wait_dscnt 0x0
	v_mul_f32_e32 v118, v94, v39
	v_mul_f32_e32 v104, v96, v47
	;; [unrolled: 1-line block ×3, first 2 shown]
	v_mul_lo_u16 v25, 0x82, v25
	v_fmac_f32_e32 v105, v96, v46
	s_delay_alu instid0(VALU_DEP_4) | instskip(SKIP_1) | instid1(VALU_DEP_4)
	v_fma_f32 v95, v95, v46, -v104
	v_mul_f32_e32 v119, v93, v39
	v_sub_nc_u16 v100, v24, v25
	v_fma_f32 v70, v70, v40, -v106
	v_fmac_f32_e32 v113, v71, v40
	v_fma_f32 v71, v93, v38, -v118
	s_delay_alu instid0(VALU_DEP_4) | instskip(NEXT) | instid1(VALU_DEP_2)
	v_mul_lo_u16 v24, v100, 48
	v_add_f32_e32 v67, v97, v71
	s_delay_alu instid0(VALU_DEP_2) | instskip(SKIP_3) | instid1(VALU_DEP_4)
	v_dual_fmac_f32 v115, v69, v42 :: v_dual_and_b32 v24, 0xffff, v24
	v_sub_f32_e32 v71, v97, v71
	v_dual_add_f32 v97, v70, v68 :: v_dual_sub_f32 v68, v68, v70
	v_fmac_f32_e32 v119, v94, v38
	v_add_co_u32 v32, s1, s10, v24
	s_wait_alu 0xf1ff
	v_add_co_ci_u32_e64 v33, null, s11, 0, s1
	s_clause 0x2
	global_load_b128 v[28:31], v[32:33], off offset:960
	global_load_b128 v[24:27], v[32:33], off offset:976
	;; [unrolled: 1-line block ×3, first 2 shown]
	v_cmp_lt_u16_e64 s1, 0x81, v107
	v_add_f32_e32 v94, v95, v66
	v_sub_f32_e32 v66, v95, v66
	global_wb scope:SCOPE_SE
	s_wait_loadcnt 0x0
	s_barrier_signal -1
	s_wait_alu 0xf1ff
	v_cndmask_b32_e64 v101, 0, 0x38e, s1
	s_barrier_wait -1
	global_inv scope:SCOPE_SE
	v_sub_f32_e32 v104, v94, v67
	v_dual_fmac_f32 v103, v98, v44 :: v_dual_add_f32 v96, v105, v117
	v_add_lshl_u32 v112, v99, v101, 3
	v_dual_sub_f32 v95, v105, v117 :: v_dual_add_f32 v106, v68, v66
	v_add_f32_e32 v102, v94, v67
	s_delay_alu instid0(VALU_DEP_3)
	v_dual_add_f32 v98, v113, v115 :: v_dual_add_nc_u32 v99, 0x800, v112
	v_dual_sub_f32 v70, v115, v113 :: v_dual_add_nc_u32 v101, 0x1000, v112
	v_dual_sub_f32 v114, v68, v66 :: v_dual_sub_f32 v67, v67, v97
	v_sub_f32_e32 v116, v66, v71
	v_dual_add_f32 v69, v103, v119 :: v_dual_sub_f32 v94, v97, v94
	v_sub_f32_e32 v93, v103, v119
	v_dual_sub_f32 v115, v70, v95 :: v_dual_sub_f32 v68, v71, v68
	s_delay_alu instid0(VALU_DEP_3) | instskip(SKIP_2) | instid1(VALU_DEP_3)
	v_add_f32_e32 v103, v96, v69
	v_dual_sub_f32 v105, v96, v69 :: v_dual_sub_f32 v96, v98, v96
	v_add_f32_e32 v113, v70, v95
	v_dual_sub_f32 v69, v69, v98 :: v_dual_add_f32 v98, v98, v103
	v_dual_sub_f32 v70, v93, v70 :: v_dual_sub_f32 v95, v95, v93
	v_add_f32_e32 v71, v106, v71
	v_dual_mul_f32 v103, 0x3d64c772, v94 :: v_dual_mul_f32 v106, 0x3d64c772, v96
	s_delay_alu instid0(VALU_DEP_4) | instskip(SKIP_4) | instid1(VALU_DEP_4)
	v_dual_mul_f32 v69, 0x3f4a47b2, v69 :: v_dual_mul_f32 v120, v57, v31
	v_dual_mul_f32 v118, v59, v29 :: v_dual_add_f32 v97, v97, v102
	v_dual_mul_f32 v102, 0x3f4a47b2, v67 :: v_dual_add_f32 v93, v113, v93
	v_dual_mul_f32 v113, 0xbf08b237, v114 :: v_dual_mul_f32 v126, v51, v33
	v_mul_f32_e32 v114, 0xbf08b237, v115
	v_dual_mul_f32 v117, 0x3f5ff5aa, v95 :: v_dual_add_f32 v66, v62, v97
	v_mul_f32_e32 v121, v56, v31
	v_mul_f32_e32 v124, v53, v27
	v_fmamk_f32 v62, v94, 0x3d64c772, v102
	v_fma_f32 v94, 0x3f3bfb3b, v104, -v103
	v_fma_f32 v102, 0xbf3bfb3b, v104, -v102
	v_dual_fmamk_f32 v104, v70, 0x3eae86e6, v114 :: v_dual_mul_f32 v125, v52, v27
	v_dual_mul_f32 v115, 0x3f5ff5aa, v116 :: v_dual_mul_f32 v128, v65, v35
	v_fma_f32 v95, 0x3f5ff5aa, v95, -v114
	v_fma_f32 v56, v56, v30, -v120
	v_mul_f32_e32 v127, v50, v33
	v_fma_f32 v50, v50, v32, -v126
	v_dual_fmac_f32 v104, 0x3ee1c552, v93 :: v_dual_fmac_f32 v125, v53, v26
	v_fmamk_f32 v53, v97, 0xbf955555, v66
	v_dual_mul_f32 v129, v64, v35 :: v_dual_mul_f32 v122, v55, v25
	v_add_f32_e32 v67, v63, v98
	v_fmac_f32_e32 v121, v57, v30
	v_fmac_f32_e32 v95, 0x3ee1c552, v93
	v_add_f32_e32 v57, v62, v53
	v_dual_add_f32 v62, v94, v53 :: v_dual_fmac_f32 v129, v65, v34
	v_fmamk_f32 v63, v96, 0x3d64c772, v69
	v_fma_f32 v96, 0x3f3bfb3b, v105, -v106
	v_fma_f32 v106, 0xbeae86e6, v68, -v115
	v_add_f32_e32 v115, v56, v50
	v_dual_sub_f32 v50, v56, v50 :: v_dual_fmac_f32 v127, v51, v32
	v_mul_f32_e32 v123, v54, v25
	s_delay_alu instid0(VALU_DEP_4)
	v_dual_mul_f32 v119, v58, v29 :: v_dual_fmac_f32 v106, 0x3ee1c552, v71
	v_fma_f32 v69, 0xbf3bfb3b, v105, -v69
	v_fma_f32 v105, 0x3f5ff5aa, v116, -v113
	;; [unrolled: 1-line block ×4, first 2 shown]
	v_dual_add_f32 v116, v121, v127 :: v_dual_fmac_f32 v123, v55, v24
	v_fma_f32 v58, v58, v28, -v118
	v_fma_f32 v51, v64, v34, -v128
	v_dual_add_f32 v64, v104, v57 :: v_dual_sub_f32 v97, v57, v104
	s_delay_alu instid0(VALU_DEP_4)
	v_add_f32_e32 v118, v123, v125
	v_dual_fmac_f32 v119, v59, v28 :: v_dual_sub_f32 v56, v121, v127
	v_fmamk_f32 v103, v68, 0x3eae86e6, v113
	v_fma_f32 v113, 0xbeae86e6, v70, -v117
	v_add_f32_e32 v53, v102, v53
	v_add_f32_e32 v102, v58, v51
	v_sub_f32_e32 v51, v58, v51
	v_add_f32_e32 v117, v54, v52
	v_sub_f32_e32 v70, v62, v95
	v_dual_sub_f32 v58, v119, v129 :: v_dual_fmac_f32 v103, 0x3ee1c552, v71
	v_fmac_f32_e32 v113, 0x3ee1c552, v93
	v_dual_fmamk_f32 v55, v98, 0xbf955555, v67 :: v_dual_add_f32 v114, v119, v129
	v_dual_sub_f32 v52, v52, v54 :: v_dual_fmac_f32 v105, 0x3ee1c552, v71
	v_sub_f32_e32 v54, v125, v123
	s_delay_alu instid0(VALU_DEP_3) | instskip(SKIP_1) | instid1(VALU_DEP_4)
	v_dual_add_f32 v68, v113, v53 :: v_dual_add_f32 v59, v63, v55
	v_add_f32_e32 v63, v96, v55
	v_dual_add_f32 v55, v69, v55 :: v_dual_add_f32 v104, v52, v50
	s_delay_alu instid0(VALU_DEP_1)
	v_dual_sub_f32 v69, v55, v106 :: v_dual_add_f32 v96, v106, v55
	v_dual_add_f32 v93, v95, v62 :: v_dual_sub_f32 v62, v102, v117
	v_sub_f32_e32 v106, v52, v50
	v_dual_sub_f32 v52, v51, v52 :: v_dual_add_f32 v71, v105, v63
	v_dual_sub_f32 v94, v63, v105 :: v_dual_add_f32 v105, v54, v56
	v_sub_f32_e32 v65, v59, v103
	v_dual_add_f32 v98, v103, v59 :: v_dual_sub_f32 v95, v53, v113
	v_add_f32_e32 v55, v116, v114
	v_sub_f32_e32 v59, v116, v114
	v_sub_f32_e32 v63, v114, v118
	;; [unrolled: 1-line block ×5, first 2 shown]
	v_add_f32_e32 v58, v105, v58
	v_sub_f32_e32 v114, v50, v51
	v_dual_add_f32 v104, v104, v51 :: v_dual_add_f32 v53, v115, v102
	v_dual_sub_f32 v57, v115, v102 :: v_dual_sub_f32 v102, v117, v115
	v_mul_f32_e32 v50, 0x3f4a47b2, v62
	v_mul_f32_e32 v105, 0xbf08b237, v106
	v_sub_f32_e32 v103, v118, v116
	v_mul_f32_e32 v51, 0x3f4a47b2, v63
	v_mul_f32_e32 v62, 0x3d64c772, v102
	v_fmamk_f32 v102, v102, 0x3d64c772, v50
	v_fma_f32 v116, 0xbf3bfb3b, v57, -v50
	v_fmamk_f32 v50, v52, 0x3eae86e6, v105
	v_mul_f32_e32 v106, 0xbf08b237, v113
	v_mul_f32_e32 v113, 0x3f5ff5aa, v114
	v_mul_f32_e32 v63, 0x3d64c772, v103
	v_mul_f32_e32 v115, 0x3f5ff5aa, v56
	v_dual_fmac_f32 v50, 0x3ee1c552, v104 :: v_dual_add_f32 v53, v117, v53
	v_fmamk_f32 v103, v103, 0x3d64c772, v51
	v_fma_f32 v117, 0xbf3bfb3b, v59, -v51
	v_fmamk_f32 v51, v54, 0x3eae86e6, v106
	v_fma_f32 v106, 0x3f5ff5aa, v56, -v106
	v_add_f32_e32 v48, v48, v53
	v_fma_f32 v56, 0xbeae86e6, v52, -v113
	v_fma_f32 v105, 0x3f5ff5aa, v114, -v105
	v_fmac_f32_e32 v51, 0x3ee1c552, v58
	v_fmac_f32_e32 v106, 0x3ee1c552, v58
	v_dual_fmamk_f32 v52, v53, 0xbf955555, v48 :: v_dual_add_f32 v55, v118, v55
	v_fmac_f32_e32 v56, 0x3ee1c552, v104
	v_fma_f32 v62, 0x3f3bfb3b, v57, -v62
	v_fma_f32 v57, 0xbeae86e6, v54, -v115
	v_fmac_f32_e32 v105, 0x3ee1c552, v104
	v_add_f32_e32 v49, v49, v55
	v_and_b32_e32 v113, 0xffff, v100
	s_delay_alu instid0(VALU_DEP_4) | instskip(NEXT) | instid1(VALU_DEP_3)
	v_dual_add_f32 v54, v62, v52 :: v_dual_fmac_f32 v57, 0x3ee1c552, v58
	v_dual_add_f32 v58, v102, v52 :: v_dual_fmamk_f32 v53, v55, 0xbf955555, v49
	v_add_f32_e32 v62, v116, v52
	s_delay_alu instid0(VALU_DEP_3)
	v_sub_f32_e32 v52, v54, v106
	v_add_f32_e32 v54, v106, v54
	v_fma_f32 v63, 0x3f3bfb3b, v59, -v63
	v_add_f32_e32 v59, v103, v53
	v_sub_f32_e32 v103, v58, v51
	ds_store_2addr_b64 v112, v[66:67], v[64:65] offset1:130
	ds_store_2addr_b64 v99, v[68:69], v[70:71] offset0:4 offset1:134
	ds_store_2addr_b64 v101, v[93:94], v[95:96] offset0:8 offset1:138
	ds_store_b64 v112, v[97:98] offset:6240
	v_add_f32_e32 v55, v63, v53
	v_dual_add_f32 v63, v117, v53 :: v_dual_add_f32 v104, v50, v59
	s_delay_alu instid0(VALU_DEP_2) | instskip(SKIP_1) | instid1(VALU_DEP_3)
	v_add_f32_e32 v53, v105, v55
	v_sub_f32_e32 v55, v55, v105
	v_dual_sub_f32 v105, v62, v57 :: v_dual_add_f32 v106, v56, v63
	s_and_saveexec_b32 s1, s0
	s_cbranch_execz .LBB0_9
; %bb.8:
	v_dual_sub_f32 v63, v63, v56 :: v_dual_lshlrev_b32 v64, 3, v113
	v_add_f32_e32 v62, v57, v62
	v_sub_f32_e32 v57, v59, v50
	v_add_f32_e32 v56, v51, v58
	s_delay_alu instid0(VALU_DEP_4)
	v_add_nc_u32_e32 v50, 0x1c00, v64
	v_add_nc_u32_e32 v51, 0x2400, v64
	v_add_nc_u32_e32 v58, 0x2c00, v64
	ds_store_2addr_b64 v50, v[48:49], v[56:57] offset0:14 offset1:144
	ds_store_2addr_b64 v51, v[62:63], v[52:53] offset0:18 offset1:148
	;; [unrolled: 1-line block ×3, first 2 shown]
	ds_store_b64 v64, v[103:104] offset:13520
.LBB0_9:
	s_wait_alu 0xfffe
	s_or_b32 exec_lo, exec_lo, s1
	global_wb scope:SCOPE_SE
	s_wait_dscnt 0x0
	s_barrier_signal -1
	s_barrier_wait -1
	global_inv scope:SCOPE_SE
	s_clause 0x4
	global_load_b64 v[93:94], v108, s[10:11] offset:7200
	global_load_b64 v[95:96], v108, s[10:11] offset:8656
	;; [unrolled: 1-line block ×5, first 2 shown]
	v_add_nc_u32_e32 v128, 0x1600, v108
	v_add_nc_u32_e32 v114, 0x2000, v108
	s_add_nc_u64 s[8:9], s[8:9], 0x38e0
	ds_load_2addr_b64 v[48:51], v128 offset0:24 offset1:206
	s_wait_loadcnt_dscnt 0x400
	v_dual_mul_f32 v70, v51, v94 :: v_dual_add_nc_u32 v129, 0x2c00, v108
	ds_load_2addr_b64 v[56:59], v114 offset0:68 offset1:250
	ds_load_2addr_b64 v[62:65], v129 offset0:48 offset1:230
	v_dual_mul_f32 v71, v50, v94 :: v_dual_add_nc_u32 v130, 0xa00, v108
	v_fma_f32 v50, v50, v93, -v70
	s_delay_alu instid0(VALU_DEP_2)
	v_fmac_f32_e32 v71, v51, v93
	s_wait_loadcnt_dscnt 0x201
	v_dual_mul_f32 v119, v57, v96 :: v_dual_mul_f32 v122, v58, v98
	s_wait_loadcnt_dscnt 0x0
	v_mul_f32_e32 v125, v65, v102
	ds_load_2addr_b64 v[66:69], v108 offset1:182
	ds_load_2addr_b64 v[115:118], v130 offset0:44 offset1:226
	v_dual_mul_f32 v120, v56, v96 :: v_dual_mul_f32 v121, v59, v98
	v_dual_mul_f32 v123, v63, v100 :: v_dual_mul_f32 v126, v64, v102
	v_mul_f32_e32 v124, v62, v100
	v_fma_f32 v56, v56, v95, -v119
	v_fmac_f32_e32 v122, v59, v97
	v_fmac_f32_e32 v120, v57, v95
	v_fma_f32 v58, v58, v97, -v121
	v_fma_f32 v62, v62, v99, -v123
	v_fmac_f32_e32 v126, v65, v101
	v_fma_f32 v64, v64, v101, -v125
	s_delay_alu instid0(VALU_DEP_1)
	v_dual_sub_f32 v65, v49, v126 :: v_dual_sub_f32 v64, v48, v64
	s_wait_dscnt 0x1
	v_sub_f32_e32 v51, v67, v71
	v_fmac_f32_e32 v124, v63, v99
	v_sub_f32_e32 v50, v66, v50
	v_sub_f32_e32 v56, v68, v56
	s_wait_dscnt 0x0
	v_sub_f32_e32 v59, v116, v122
	v_dual_sub_f32 v57, v69, v120 :: v_dual_sub_f32 v58, v115, v58
	v_dual_sub_f32 v62, v117, v62 :: v_dual_sub_f32 v63, v118, v124
	v_fma_f32 v66, v66, 2.0, -v50
	v_fma_f32 v67, v67, 2.0, -v51
	v_fma_f32 v68, v68, 2.0, -v56
	v_fma_f32 v69, v69, 2.0, -v57
	v_fma_f32 v70, v115, 2.0, -v58
	v_fma_f32 v71, v116, 2.0, -v59
	v_fma_f32 v115, v117, 2.0, -v62
	v_fma_f32 v116, v118, 2.0, -v63
	v_fma_f32 v48, v48, 2.0, -v64
	v_fma_f32 v49, v49, 2.0, -v65
	ds_store_b64 v108, v[50:51] offset:7280
	ds_store_2addr_b64 v108, v[66:67], v[68:69] offset1:182
	ds_store_2addr_b64 v114, v[56:57], v[58:59] offset0:68 offset1:250
	ds_store_2addr_b64 v130, v[70:71], v[115:116] offset0:44 offset1:226
	ds_store_b64 v108, v[48:49] offset:5824
	ds_store_2addr_b64 v129, v[62:63], v[64:65] offset0:48 offset1:230
	global_wb scope:SCOPE_SE
	s_wait_dscnt 0x0
	s_barrier_signal -1
	s_barrier_wait -1
	global_inv scope:SCOPE_SE
	s_clause 0x9
	global_load_b64 v[56:57], v[60:61], off offset:14560
	global_load_b64 v[58:59], v108, s[8:9] offset:1456
	global_load_b64 v[68:69], v108, s[8:9] offset:2912
	;; [unrolled: 1-line block ×9, first 2 shown]
	ds_load_2addr_b64 v[48:51], v108 offset1:182
	s_wait_loadcnt_dscnt 0x900
	v_mul_f32_e32 v61, v49, v57
	v_mul_f32_e32 v60, v48, v57
	s_wait_loadcnt 0x8
	v_mul_f32_e32 v62, v51, v59
	v_mul_f32_e32 v57, v50, v59
	v_fma_f32 v59, v48, v56, -v61
	v_fmac_f32_e32 v60, v49, v56
	s_delay_alu instid0(VALU_DEP_4) | instskip(NEXT) | instid1(VALU_DEP_4)
	v_fma_f32 v56, v50, v58, -v62
	v_fmac_f32_e32 v57, v51, v58
	ds_store_2addr_b64 v108, v[59:60], v[56:57] offset1:182
	ds_load_2addr_b64 v[48:51], v130 offset0:44 offset1:226
	ds_load_2addr_b64 v[56:59], v128 offset0:24 offset1:206
	;; [unrolled: 1-line block ×4, first 2 shown]
	s_wait_loadcnt_dscnt 0x703
	v_mul_f32_e32 v131, v49, v69
	s_wait_loadcnt 0x6
	v_dual_mul_f32 v127, v48, v69 :: v_dual_mul_f32 v132, v51, v71
	v_mul_f32_e32 v69, v50, v71
	s_wait_loadcnt_dscnt 0x502
	v_mul_f32_e32 v71, v56, v116
	s_wait_loadcnt 0x4
	v_dual_mul_f32 v133, v57, v116 :: v_dual_mul_f32 v134, v59, v118
	s_wait_loadcnt_dscnt 0x301
	v_dual_mul_f32 v135, v61, v120 :: v_dual_mul_f32 v116, v58, v118
	s_wait_loadcnt_dscnt 0x100
	v_mul_f32_e32 v137, v65, v124
	v_dual_mul_f32 v118, v60, v120 :: v_dual_fmac_f32 v71, v57, v115
	v_dual_mul_f32 v136, v63, v122 :: v_dual_fmac_f32 v127, v49, v68
	v_mul_f32_e32 v120, v62, v122
	v_mul_f32_e32 v122, v64, v124
	s_wait_loadcnt 0x0
	v_mul_f32_e32 v138, v67, v126
	v_mul_f32_e32 v124, v66, v126
	v_fma_f32 v126, v48, v68, -v131
	v_fma_f32 v68, v50, v70, -v132
	v_fmac_f32_e32 v69, v51, v70
	v_fma_f32 v70, v56, v115, -v133
	v_fma_f32 v115, v58, v117, -v134
	v_fmac_f32_e32 v116, v59, v117
	v_fma_f32 v117, v60, v119, -v135
	v_fmac_f32_e32 v118, v61, v119
	;; [unrolled: 2-line block ×5, first 2 shown]
	ds_store_2addr_b64 v130, v[126:127], v[68:69] offset0:44 offset1:226
	ds_store_2addr_b64 v128, v[70:71], v[115:116] offset0:24 offset1:206
	;; [unrolled: 1-line block ×4, first 2 shown]
	global_wb scope:SCOPE_SE
	s_wait_dscnt 0x0
	s_barrier_signal -1
	s_barrier_wait -1
	global_inv scope:SCOPE_SE
	ds_load_2addr_b64 v[48:51], v108 offset1:182
	ds_load_2addr_b64 v[56:59], v130 offset0:44 offset1:226
	ds_load_2addr_b64 v[60:63], v128 offset0:24 offset1:206
	;; [unrolled: 1-line block ×4, first 2 shown]
	global_wb scope:SCOPE_SE
	s_wait_dscnt 0x0
	s_barrier_signal -1
	s_barrier_wait -1
	global_inv scope:SCOPE_SE
	v_add_f32_e32 v115, v48, v56
	v_sub_f32_e32 v119, v56, v60
	v_dual_add_f32 v116, v60, v64 :: v_dual_add_f32 v125, v61, v65
	v_dual_sub_f32 v120, v68, v64 :: v_dual_sub_f32 v127, v57, v61
	v_dual_add_f32 v121, v56, v68 :: v_dual_add_f32 v124, v49, v57
	v_add_f32_e32 v141, v63, v67
	v_sub_f32_e32 v117, v57, v69
	v_dual_sub_f32 v118, v61, v65 :: v_dual_sub_f32 v133, v59, v71
	v_dual_sub_f32 v122, v60, v56 :: v_dual_add_f32 v129, v57, v69
	v_sub_f32_e32 v123, v64, v68
	v_dual_sub_f32 v56, v56, v68 :: v_dual_sub_f32 v57, v61, v57
	v_dual_sub_f32 v126, v60, v64 :: v_dual_sub_f32 v143, v59, v63
	v_dual_sub_f32 v128, v69, v65 :: v_dual_add_f32 v145, v59, v71
	v_dual_sub_f32 v130, v65, v69 :: v_dual_add_f32 v131, v50, v58
	v_dual_add_f32 v132, v62, v66 :: v_dual_add_f32 v61, v124, v61
	v_dual_add_f32 v137, v58, v70 :: v_dual_add_f32 v140, v51, v59
	v_add_f32_e32 v60, v115, v60
	v_fma_f32 v115, -0.5, v116, v48
	v_add_f32_e32 v116, v119, v120
	v_fma_f32 v119, -0.5, v121, v48
	v_sub_f32_e32 v135, v58, v62
	v_dual_sub_f32 v136, v70, v66 :: v_dual_add_f32 v121, v127, v128
	v_sub_f32_e32 v144, v71, v67
	v_sub_f32_e32 v59, v63, v59
	;; [unrolled: 1-line block ×3, first 2 shown]
	v_dual_sub_f32 v146, v67, v71 :: v_dual_add_f32 v61, v61, v65
	v_add_f32_e32 v48, v122, v123
	v_fma_f32 v120, -0.5, v125, v49
	v_fma_f32 v122, -0.5, v129, v49
	v_add_f32_e32 v49, v57, v130
	v_add_f32_e32 v57, v131, v62
	v_fma_f32 v123, -0.5, v132, v50
	v_fma_f32 v50, -0.5, v137, v50
	;; [unrolled: 1-line block ×3, first 2 shown]
	v_dual_fmac_f32 v51, -0.5, v145 :: v_dual_sub_f32 v138, v62, v58
	v_dual_add_f32 v63, v140, v63 :: v_dual_fmamk_f32 v128, v118, 0x3f737871, v119
	v_add_f32_e32 v61, v61, v69
	v_fmac_f32_e32 v119, 0xbf737871, v118
	v_dual_sub_f32 v58, v58, v70 :: v_dual_add_f32 v127, v143, v144
	v_sub_f32_e32 v139, v66, v70
	v_sub_f32_e32 v142, v62, v66
	v_dual_add_f32 v62, v135, v136 :: v_dual_add_f32 v57, v57, v66
	v_fmamk_f32 v65, v56, 0x3f737871, v120
	v_add_f32_e32 v60, v60, v64
	v_dual_fmamk_f32 v64, v117, 0xbf737871, v115 :: v_dual_add_f32 v63, v63, v67
	v_fmac_f32_e32 v115, 0x3f737871, v117
	v_fmac_f32_e32 v120, 0xbf737871, v56
	v_fmamk_f32 v129, v126, 0xbf737871, v122
	v_dual_fmac_f32 v122, 0x3f737871, v126 :: v_dual_fmamk_f32 v67, v58, 0x3f737871, v125
	v_fmamk_f32 v130, v134, 0x3f737871, v50
	v_dual_fmac_f32 v50, 0xbf737871, v134 :: v_dual_fmamk_f32 v131, v142, 0xbf737871, v51
	v_dual_fmac_f32 v125, 0xbf737871, v58 :: v_dual_add_f32 v124, v138, v139
	v_dual_add_f32 v59, v59, v146 :: v_dual_fmamk_f32 v66, v133, 0xbf737871, v123
	v_fmac_f32_e32 v51, 0x3f737871, v142
	s_delay_alu instid0(VALU_DEP_3)
	v_dual_fmac_f32 v128, 0xbf167918, v117 :: v_dual_fmac_f32 v125, 0xbf167918, v142
	v_fmac_f32_e32 v119, 0x3f167918, v117
	v_dual_fmac_f32 v65, 0x3f167918, v126 :: v_dual_fmac_f32 v50, 0x3f167918, v133
	v_fmac_f32_e32 v129, 0x3f167918, v56
	v_dual_fmac_f32 v122, 0xbf167918, v56 :: v_dual_fmac_f32 v51, 0xbf167918, v58
	v_dual_add_f32 v56, v57, v70 :: v_dual_add_f32 v57, v63, v71
	v_fmac_f32_e32 v64, 0xbf167918, v118
	v_fmac_f32_e32 v123, 0x3f737871, v133
	v_dual_fmac_f32 v128, 0x3e9e377a, v48 :: v_dual_fmac_f32 v129, 0x3e9e377a, v49
	v_dual_fmac_f32 v119, 0x3e9e377a, v48 :: v_dual_fmac_f32 v122, 0x3e9e377a, v49
	;; [unrolled: 1-line block ×3, first 2 shown]
	v_fmac_f32_e32 v125, 0x3e9e377a, v127
	v_dual_fmac_f32 v66, 0xbf167918, v134 :: v_dual_add_f32 v49, v61, v57
	v_fmac_f32_e32 v64, 0x3e9e377a, v116
	v_dual_fmac_f32 v131, 0x3f167918, v58 :: v_dual_add_f32 v60, v60, v68
	v_fmac_f32_e32 v115, 0x3f167918, v118
	v_fmac_f32_e32 v123, 0x3f167918, v134
	;; [unrolled: 1-line block ×3, first 2 shown]
	s_delay_alu instid0(VALU_DEP_4)
	v_fmac_f32_e32 v131, 0x3e9e377a, v59
	v_fmac_f32_e32 v51, 0x3e9e377a, v59
	v_mul_f32_e32 v59, 0xbf167918, v125
	v_fmac_f32_e32 v66, 0x3e9e377a, v62
	v_dual_fmac_f32 v120, 0xbf167918, v126 :: v_dual_sub_f32 v63, v61, v57
	v_fmac_f32_e32 v115, 0x3e9e377a, v116
	v_dual_add_f32 v48, v60, v56 :: v_dual_fmac_f32 v123, 0x3e9e377a, v62
	v_dual_sub_f32 v62, v60, v56 :: v_dual_fmac_f32 v67, 0x3e9e377a, v127
	v_mul_f32_e32 v58, 0xbf737871, v51
	v_mul_f32_e32 v116, 0x3f167918, v66
	v_fmac_f32_e32 v120, 0x3e9e377a, v121
	v_mul_f32_e32 v57, 0xbf737871, v131
	s_delay_alu instid0(VALU_DEP_4) | instskip(NEXT) | instid1(VALU_DEP_4)
	v_fmac_f32_e32 v58, 0xbe9e377a, v50
	v_fmac_f32_e32 v116, 0x3f4f1bbd, v67
	;; [unrolled: 1-line block ×3, first 2 shown]
	s_delay_alu instid0(VALU_DEP_3) | instskip(NEXT) | instid1(VALU_DEP_3)
	v_add_f32_e32 v70, v119, v58
	v_dual_mul_f32 v118, 0xbe9e377a, v51 :: v_dual_add_f32 v51, v65, v116
	s_delay_alu instid0(VALU_DEP_3) | instskip(SKIP_3) | instid1(VALU_DEP_3)
	v_fmac_f32_e32 v130, 0x3e9e377a, v124
	v_fmac_f32_e32 v59, 0xbf4f1bbd, v123
	v_mul_f32_e32 v121, 0xbf4f1bbd, v125
	v_sub_f32_e32 v65, v65, v116
	v_dual_fmac_f32 v57, 0x3e9e377a, v130 :: v_dual_add_f32 v60, v115, v59
	s_delay_alu instid0(VALU_DEP_1) | instskip(SKIP_1) | instid1(VALU_DEP_2)
	v_dual_fmac_f32 v121, 0x3f167918, v123 :: v_dual_add_f32 v68, v128, v57
	v_mul_f32_e32 v117, 0x3e9e377a, v131
	v_dual_add_f32 v61, v120, v121 :: v_dual_fmac_f32 v118, 0x3f737871, v50
	s_delay_alu instid0(VALU_DEP_2) | instskip(NEXT) | instid1(VALU_DEP_1)
	v_fmac_f32_e32 v117, 0x3f737871, v130
	v_dual_mul_f32 v56, 0xbf167918, v67 :: v_dual_add_f32 v69, v129, v117
	s_delay_alu instid0(VALU_DEP_1) | instskip(NEXT) | instid1(VALU_DEP_1)
	v_dual_fmac_f32 v56, 0x3f4f1bbd, v66 :: v_dual_sub_f32 v67, v129, v117
	v_add_f32_e32 v50, v64, v56
	v_sub_f32_e32 v64, v64, v56
	v_sub_f32_e32 v56, v119, v58
	;; [unrolled: 1-line block ×5, first 2 shown]
	v_add_f32_e32 v71, v122, v118
	v_sub_f32_e32 v57, v122, v118
	ds_store_b128 v110, v[48:51]
	ds_store_b128 v110, v[68:71] offset:16
	ds_store_b128 v110, v[60:63] offset:32
	;; [unrolled: 1-line block ×4, first 2 shown]
	global_wb scope:SCOPE_SE
	s_wait_dscnt 0x0
	s_barrier_signal -1
	s_barrier_wait -1
	global_inv scope:SCOPE_SE
	s_and_saveexec_b32 s1, vcc_lo
	s_cbranch_execz .LBB0_11
; %bb.10:
	v_add_nc_u32_e32 v52, 0x800, v108
	v_add_nc_u32_e32 v53, 0x1000, v108
	;; [unrolled: 1-line block ×4, first 2 shown]
	ds_load_2addr_b64 v[48:51], v108 offset1:140
	ds_load_2addr_b64 v[68:71], v52 offset0:24 offset1:164
	ds_load_2addr_b64 v[60:63], v53 offset0:48 offset1:188
	;; [unrolled: 1-line block ×5, first 2 shown]
	ds_load_b64 v[105:106], v108 offset:13440
.LBB0_11:
	s_wait_alu 0xfffe
	s_or_b32 exec_lo, exec_lo, s1
	s_wait_dscnt 0x6
	v_mul_f32_e32 v110, v21, v51
	s_wait_dscnt 0x5
	v_dual_mul_f32 v114, v21, v50 :: v_dual_mul_f32 v21, v23, v69
	v_mul_f32_e32 v23, v23, v68
	global_wb scope:SCOPE_SE
	s_wait_dscnt 0x0
	v_fmac_f32_e32 v110, v20, v50
	v_fma_f32 v114, v20, v51, -v114
	v_dual_mul_f32 v20, v17, v71 :: v_dual_fmac_f32 v21, v22, v68
	v_dual_mul_f32 v50, v17, v70 :: v_dual_mul_f32 v17, v19, v61
	v_fma_f32 v51, v22, v69, -v23
	v_mul_f32_e32 v22, v19, v60
	s_delay_alu instid0(VALU_DEP_4) | instskip(NEXT) | instid1(VALU_DEP_4)
	v_dual_fmac_f32 v20, v16, v70 :: v_dual_mul_f32 v19, v11, v65
	v_fmac_f32_e32 v17, v18, v60
	v_fma_f32 v50, v16, v71, -v50
	v_dual_mul_f32 v16, v9, v63 :: v_dual_mul_f32 v11, v11, v64
	v_mul_f32_e32 v9, v9, v62
	v_fma_f32 v68, v18, v61, -v22
	v_mul_f32_e32 v18, v5, v67
	v_dual_mul_f32 v5, v5, v66 :: v_dual_mul_f32 v22, v7, v57
	v_dual_fmac_f32 v16, v8, v62 :: v_dual_fmac_f32 v19, v10, v64
	v_mul_f32_e32 v7, v7, v56
	s_delay_alu instid0(VALU_DEP_4) | instskip(NEXT) | instid1(VALU_DEP_4)
	v_dual_mul_f32 v23, v13, v59 :: v_dual_fmac_f32 v18, v4, v66
	v_fma_f32 v62, v4, v67, -v5
	v_dual_mul_f32 v4, v3, v105 :: v_dual_mul_f32 v5, v13, v58
	v_dual_mul_f32 v13, v3, v106 :: v_dual_fmac_f32 v22, v6, v56
	s_delay_alu instid0(VALU_DEP_4) | instskip(SKIP_2) | instid1(VALU_DEP_4)
	v_fmac_f32_e32 v23, v12, v58
	v_fma_f32 v56, v6, v57, -v7
	v_mul_f32_e32 v57, v15, v53
	v_fmac_f32_e32 v13, v2, v105
	v_mul_f32_e32 v3, v15, v52
	v_fma_f32 v15, v2, v106, -v4
	v_fma_f32 v58, v12, v59, -v5
	;; [unrolled: 1-line block ×3, first 2 shown]
	v_sub_f32_e32 v142, v110, v13
	v_fma_f32 v12, v14, v53, -v3
	v_dual_sub_f32 v2, v114, v15 :: v_dual_add_f32 v3, v15, v114
	v_dual_fmac_f32 v57, v14, v52 :: v_dual_mul_f32 v14, v1, v55
	v_mul_f32_e32 v1, v1, v54
	s_delay_alu instid0(VALU_DEP_3) | instskip(NEXT) | instid1(VALU_DEP_4)
	v_mul_f32_e32 v53, 0xbeedf032, v2
	v_dual_mul_f32 v64, 0x3f116cb1, v3 :: v_dual_add_f32 v141, v13, v110
	s_delay_alu instid0(VALU_DEP_4) | instskip(NEXT) | instid1(VALU_DEP_4)
	v_fmac_f32_e32 v14, v0, v54
	v_fma_f32 v52, v0, v55, -v1
	v_mul_f32_e32 v121, 0xbf29c268, v2
	v_fma_f32 v60, v10, v65, -v11
	v_fma_f32 v4, 0x3f62ad3f, v141, -v53
	v_dual_mul_f32 v67, 0xbf7e222b, v2 :: v_dual_add_f32 v154, v14, v21
	v_mul_f32_e32 v129, 0xbe750f2a, v2
	s_delay_alu instid0(VALU_DEP_3)
	v_dual_sub_f32 v155, v21, v14 :: v_dual_add_f32 v0, v48, v4
	v_mul_f32_e32 v117, 0xbeb58ec6, v3
	v_mul_f32_e32 v106, 0xbf6f5d39, v2
	;; [unrolled: 1-line block ×3, first 2 shown]
	v_fmamk_f32 v4, v142, 0xbf52af12, v64
	v_fma_f32 v10, 0xbf3f9e67, v141, -v121
	v_fmamk_f32 v9, v142, 0xbf6f5d39, v117
	v_fma_f32 v8, 0xbeb58ec6, v141, -v106
	v_mul_f32_e32 v63, 0xbf52af12, v2
	s_delay_alu instid0(VALU_DEP_4) | instskip(SKIP_1) | instid1(VALU_DEP_4)
	v_dual_fmamk_f32 v5, v142, 0xbeedf032, v59 :: v_dual_add_f32 v2, v48, v10
	v_mul_f32_e32 v70, 0x3df6dbef, v3
	v_add_f32_e32 v8, v48, v8
	s_delay_alu instid0(VALU_DEP_4) | instskip(NEXT) | instid1(VALU_DEP_4)
	v_fma_f32 v6, 0x3f116cb1, v141, -v63
	v_dual_add_f32 v1, v49, v5 :: v_dual_mul_f32 v126, 0xbf3f9e67, v3
	v_mul_f32_e32 v138, 0xbf788fa5, v3
	v_add_f32_e32 v65, v52, v51
	s_delay_alu instid0(VALU_DEP_4) | instskip(SKIP_4) | instid1(VALU_DEP_4)
	v_add_f32_e32 v5, v48, v6
	v_sub_f32_e32 v3, v51, v52
	v_fma_f32 v6, 0x3df6dbef, v141, -v67
	v_dual_fmamk_f32 v55, v142, 0xbe750f2a, v138 :: v_dual_sub_f32 v164, v20, v57
	v_mul_f32_e32 v120, 0xbf788fa5, v65
	v_dual_add_f32 v9, v49, v9 :: v_dual_mul_f32 v54, 0xbf52af12, v3
	v_mul_f32_e32 v116, 0xbe750f2a, v3
	v_add_f32_e32 v4, v49, v4
	v_dual_add_f32 v6, v48, v6 :: v_dual_add_f32 v105, v49, v55
	s_delay_alu instid0(VALU_DEP_4)
	v_fma_f32 v66, 0x3f116cb1, v154, -v54
	v_mul_f32_e32 v55, 0x3f116cb1, v65
	v_fma_f32 v119, 0xbf788fa5, v154, -v116
	v_fmamk_f32 v7, v142, 0xbf7e222b, v70
	v_mul_f32_e32 v136, 0x3f7e222b, v3
	v_add_f32_e32 v0, v66, v0
	v_fmamk_f32 v66, v155, 0xbf52af12, v55
	s_delay_alu instid0(VALU_DEP_4) | instskip(SKIP_2) | instid1(VALU_DEP_4)
	v_dual_add_f32 v6, v119, v6 :: v_dual_add_f32 v7, v49, v7
	v_fma_f32 v11, 0xbf788fa5, v141, -v129
	v_mul_f32_e32 v71, 0xbeb58ec6, v65
	v_dual_add_f32 v1, v66, v1 :: v_dual_fmamk_f32 v66, v155, 0xbe750f2a, v120
	s_delay_alu instid0(VALU_DEP_3) | instskip(NEXT) | instid1(VALU_DEP_3)
	v_dual_fmamk_f32 v10, v142, 0xbf29c268, v126 :: v_dual_add_f32 v11, v48, v11
	v_fmamk_f32 v118, v155, 0xbf6f5d39, v71
	s_delay_alu instid0(VALU_DEP_3) | instskip(NEXT) | instid1(VALU_DEP_3)
	v_dual_mul_f32 v140, 0x3df6dbef, v65 :: v_dual_add_f32 v7, v66, v7
	v_dual_mul_f32 v153, 0x3f62ad3f, v65 :: v_dual_add_f32 v10, v49, v10
	s_delay_alu instid0(VALU_DEP_3) | instskip(SKIP_2) | instid1(VALU_DEP_4)
	v_add_f32_e32 v4, v118, v4
	v_fma_f32 v118, 0x3df6dbef, v154, -v136
	v_mul_f32_e32 v69, 0xbf6f5d39, v3
	v_dual_mul_f32 v143, 0x3eedf032, v3 :: v_dual_fmamk_f32 v122, v155, 0x3eedf032, v153
	v_mul_f32_e32 v125, 0x3f29c268, v3
	v_fmamk_f32 v3, v155, 0x3f7e222b, v140
	v_dual_mul_f32 v127, 0xbf3f9e67, v65 :: v_dual_add_f32 v2, v118, v2
	v_fma_f32 v115, 0xbeb58ec6, v154, -v69
	s_delay_alu instid0(VALU_DEP_3) | instskip(SKIP_2) | instid1(VALU_DEP_4)
	v_dual_add_f32 v122, v122, v105 :: v_dual_add_f32 v3, v3, v10
	v_sub_f32_e32 v10, v50, v12
	v_add_f32_e32 v163, v57, v20
	v_add_f32_e32 v5, v115, v5
	v_fma_f32 v66, 0xbf3f9e67, v154, -v125
	s_delay_alu instid0(VALU_DEP_4) | instskip(SKIP_2) | instid1(VALU_DEP_4)
	v_dual_add_f32 v170, v23, v17 :: v_dual_mul_f32 v65, 0xbf7e222b, v10
	v_mul_f32_e32 v134, 0x3eedf032, v10
	v_mul_f32_e32 v148, 0xbf52af12, v10
	v_add_f32_e32 v8, v66, v8
	v_fma_f32 v66, 0x3f62ad3f, v154, -v143
	v_fma_f32 v123, 0x3df6dbef, v163, -v65
	v_mul_f32_e32 v118, 0xbe750f2a, v10
	v_fma_f32 v130, 0x3f116cb1, v163, -v148
	v_mul_f32_e32 v156, 0xbf29c268, v10
	v_sub_f32_e32 v172, v17, v23
	v_add_f32_e32 v0, v123, v0
	s_delay_alu instid0(VALU_DEP_4) | instskip(SKIP_3) | instid1(VALU_DEP_2)
	v_dual_fmamk_f32 v115, v155, 0x3f29c268, v127 :: v_dual_add_f32 v2, v130, v2
	v_fma_f32 v105, 0xbf788fa5, v163, -v118
	s_barrier_signal -1
	s_barrier_wait -1
	v_add_f32_e32 v9, v115, v9
	v_add_f32_e32 v115, v12, v50
	global_inv scope:SCOPE_SE
	v_add_f32_e32 v176, v22, v16
	v_dual_sub_f32 v180, v60, v62 :: v_dual_add_f32 v181, v18, v19
	v_mul_f32_e32 v119, 0xbf788fa5, v115
	v_add_f32_e32 v11, v66, v11
	v_mul_f32_e32 v66, 0x3df6dbef, v115
	v_mul_f32_e32 v131, 0xbeb58ec6, v115
	;; [unrolled: 1-line block ×3, first 2 shown]
	v_dual_fmamk_f32 v128, v164, 0xbe750f2a, v119 :: v_dual_add_f32 v5, v105, v5
	s_delay_alu instid0(VALU_DEP_4) | instskip(SKIP_2) | instid1(VALU_DEP_4)
	v_fmamk_f32 v124, v164, 0xbf7e222b, v66
	v_mul_f32_e32 v152, 0x3f116cb1, v115
	v_mul_f32_e32 v166, 0xbf3f9e67, v115
	v_dual_add_f32 v4, v128, v4 :: v_dual_mul_f32 v139, 0x3f62ad3f, v115
	s_delay_alu instid0(VALU_DEP_4)
	v_add_f32_e32 v1, v124, v1
	v_fmamk_f32 v124, v164, 0x3f6f5d39, v131
	v_fma_f32 v105, 0xbeb58ec6, v163, -v123
	v_fma_f32 v115, 0xbf3f9e67, v163, -v156
	v_fmamk_f32 v10, v164, 0xbf52af12, v152
	v_fma_f32 v128, 0x3f62ad3f, v163, -v134
	s_delay_alu instid0(VALU_DEP_4) | instskip(NEXT) | instid1(VALU_DEP_4)
	v_dual_add_f32 v7, v124, v7 :: v_dual_add_f32 v6, v105, v6
	v_add_f32_e32 v11, v115, v11
	v_fmamk_f32 v105, v164, 0x3eedf032, v139
	v_dual_sub_f32 v124, v68, v58 :: v_dual_add_f32 v3, v10, v3
	v_add_f32_e32 v10, v58, v68
	v_add_f32_e32 v8, v128, v8
	s_delay_alu instid0(VALU_DEP_4) | instskip(NEXT) | instid1(VALU_DEP_4)
	v_dual_fmamk_f32 v128, v164, 0xbf29c268, v166 :: v_dual_add_f32 v9, v105, v9
	v_mul_f32_e32 v165, 0x3f52af12, v124
	s_delay_alu instid0(VALU_DEP_4) | instskip(SKIP_1) | instid1(VALU_DEP_4)
	v_mul_f32_e32 v115, 0xbeb58ec6, v10
	v_mul_f32_e32 v105, 0xbf6f5d39, v124
	v_add_f32_e32 v135, v128, v122
	v_mul_f32_e32 v151, 0x3df6dbef, v10
	v_mul_f32_e32 v162, 0xbf788fa5, v10
	v_fmamk_f32 v122, v172, 0xbf6f5d39, v115
	v_fma_f32 v130, 0xbeb58ec6, v170, -v105
	v_mul_f32_e32 v174, 0x3f116cb1, v10
	v_mul_f32_e32 v149, 0xbf7e222b, v124
	s_delay_alu instid0(VALU_DEP_4) | instskip(NEXT) | instid1(VALU_DEP_4)
	v_dual_mul_f32 v160, 0x3e750f2a, v124 :: v_dual_add_f32 v1, v122, v1
	v_add_f32_e32 v0, v130, v0
	v_mul_f32_e32 v130, 0xbf3f9e67, v10
	s_delay_alu instid0(VALU_DEP_1) | instskip(NEXT) | instid1(VALU_DEP_1)
	v_dual_mul_f32 v128, 0x3f29c268, v124 :: v_dual_fmamk_f32 v137, v172, 0x3f29c268, v130
	v_fma_f32 v132, 0xbf3f9e67, v170, -v128
	s_delay_alu instid0(VALU_DEP_2) | instskip(SKIP_1) | instid1(VALU_DEP_1)
	v_add_f32_e32 v4, v137, v4
	v_fma_f32 v137, 0x3f116cb1, v170, -v165
	v_dual_mul_f32 v145, 0x3f62ad3f, v10 :: v_dual_add_f32 v10, v137, v11
	s_delay_alu instid0(VALU_DEP_1) | instskip(SKIP_2) | instid1(VALU_DEP_3)
	v_dual_mul_f32 v133, 0x3eedf032, v124 :: v_dual_fmamk_f32 v144, v172, 0x3eedf032, v145
	v_dual_fmamk_f32 v124, v172, 0xbf7e222b, v151 :: v_dual_sub_f32 v11, v61, v56
	v_add_f32_e32 v137, v56, v61
	v_fma_f32 v122, 0x3f62ad3f, v170, -v133
	v_add_f32_e32 v5, v132, v5
	v_add_f32_e32 v7, v144, v7
	;; [unrolled: 1-line block ×3, first 2 shown]
	v_fma_f32 v132, 0xbf788fa5, v170, -v160
	v_add_f32_e32 v6, v122, v6
	v_fma_f32 v122, 0x3df6dbef, v170, -v149
	s_delay_alu instid0(VALU_DEP_3) | instskip(SKIP_1) | instid1(VALU_DEP_3)
	v_add_f32_e32 v2, v132, v2
	v_mul_f32_e32 v132, 0x3f7e222b, v11
	v_add_f32_e32 v8, v122, v8
	v_fmamk_f32 v122, v172, 0x3e750f2a, v162
	s_delay_alu instid0(VALU_DEP_3) | instskip(NEXT) | instid1(VALU_DEP_2)
	v_fma_f32 v157, 0x3df6dbef, v176, -v132
	v_add_f32_e32 v3, v122, v3
	v_dual_mul_f32 v122, 0xbf29c268, v11 :: v_dual_sub_f32 v177, v16, v22
	v_mul_f32_e32 v124, 0xbf3f9e67, v137
	v_mul_f32_e32 v144, 0x3df6dbef, v137
	;; [unrolled: 1-line block ×3, first 2 shown]
	v_add_f32_e32 v5, v157, v5
	v_mul_f32_e32 v157, 0x3f116cb1, v137
	v_fmamk_f32 v150, v177, 0xbf29c268, v124
	v_fmamk_f32 v146, v172, 0x3f52af12, v174
	v_mul_f32_e32 v171, 0x3f62ad3f, v137
	v_mul_f32_e32 v169, 0x3eedf032, v11
	;; [unrolled: 1-line block ×3, first 2 shown]
	v_add_f32_e32 v1, v150, v1
	v_add_f32_e32 v146, v146, v135
	v_fma_f32 v135, 0xbf3f9e67, v176, -v122
	v_mul_f32_e32 v147, 0xbf52af12, v11
	v_fmamk_f32 v150, v177, 0x3e750f2a, v161
	v_fmamk_f32 v158, v177, 0x3f7e222b, v144
	s_delay_alu instid0(VALU_DEP_4) | instskip(NEXT) | instid1(VALU_DEP_3)
	v_dual_mul_f32 v175, 0xbf6f5d39, v11 :: v_dual_add_f32 v0, v135, v0
	v_dual_add_f32 v9, v150, v9 :: v_dual_fmamk_f32 v150, v177, 0xbf6f5d39, v182
	s_delay_alu instid0(VALU_DEP_3)
	v_add_f32_e32 v173, v158, v4
	v_fma_f32 v4, 0x3f116cb1, v176, -v147
	v_mul_f32_e32 v159, 0x3e750f2a, v11
	v_fma_f32 v158, 0x3f62ad3f, v176, -v169
	v_add_f32_e32 v11, v62, v60
	v_add_f32_e32 v188, v150, v146
	;; [unrolled: 1-line block ×3, first 2 shown]
	s_delay_alu instid0(VALU_DEP_4) | instskip(SKIP_3) | instid1(VALU_DEP_4)
	v_dual_fmamk_f32 v4, v177, 0xbf52af12, v157 :: v_dual_add_f32 v185, v158, v2
	v_fma_f32 v135, 0xbf788fa5, v176, -v159
	v_fmamk_f32 v2, v177, 0x3eedf032, v171
	v_mul_f32_e32 v137, 0xbf788fa5, v11
	v_add_f32_e32 v7, v4, v7
	v_fma_f32 v4, 0xbeb58ec6, v176, -v175
	v_add_f32_e32 v8, v135, v8
	v_dual_mul_f32 v135, 0xbe750f2a, v180 :: v_dual_add_f32 v186, v2, v3
	s_delay_alu instid0(VALU_DEP_3) | instskip(SKIP_1) | instid1(VALU_DEP_3)
	v_dual_mul_f32 v146, 0x3eedf032, v180 :: v_dual_add_f32 v187, v4, v10
	v_mul_f32_e32 v150, 0x3f62ad3f, v11
	v_fma_f32 v158, 0xbf788fa5, v181, -v135
	v_sub_f32_e32 v183, v19, v18
	v_mul_f32_e32 v179, 0xbeb58ec6, v11
	v_mul_f32_e32 v184, 0x3df6dbef, v11
	s_delay_alu instid0(VALU_DEP_4) | instskip(SKIP_2) | instid1(VALU_DEP_4)
	v_add_f32_e32 v2, v158, v0
	v_fma_f32 v0, 0x3f62ad3f, v181, -v146
	v_fmamk_f32 v3, v183, 0xbe750f2a, v137
	v_fmamk_f32 v190, v183, 0x3f7e222b, v184
	s_delay_alu instid0(VALU_DEP_3) | instskip(NEXT) | instid1(VALU_DEP_3)
	v_add_f32_e32 v4, v0, v5
	v_add_f32_e32 v3, v3, v1
	v_fmamk_f32 v1, v183, 0x3eedf032, v150
	s_delay_alu instid0(VALU_DEP_1) | instskip(NEXT) | instid1(VALU_DEP_1)
	v_dual_mul_f32 v158, 0xbf29c268, v180 :: v_dual_add_f32 v5, v1, v173
	v_fma_f32 v10, 0xbf3f9e67, v181, -v158
	s_delay_alu instid0(VALU_DEP_1) | instskip(NEXT) | instid1(VALU_DEP_1)
	v_dual_mul_f32 v167, 0xbf3f9e67, v11 :: v_dual_add_f32 v6, v10, v6
	v_fmamk_f32 v178, v183, 0xbf29c268, v167
	s_delay_alu instid0(VALU_DEP_1) | instskip(SKIP_1) | instid1(VALU_DEP_2)
	v_dual_mul_f32 v168, 0x3f52af12, v180 :: v_dual_add_f32 v7, v178, v7
	v_mul_f32_e32 v178, 0xbf6f5d39, v180
	v_fma_f32 v0, 0x3f116cb1, v181, -v168
	s_delay_alu instid0(VALU_DEP_2)
	v_fma_f32 v1, 0xbeb58ec6, v181, -v178
	v_mul_f32_e32 v173, 0x3f116cb1, v11
	v_fmamk_f32 v11, v183, 0xbf6f5d39, v179
	v_mul_f32_e32 v180, 0x3f7e222b, v180
	v_add_f32_e32 v8, v0, v8
	v_add_f32_e32 v10, v1, v185
	v_fmamk_f32 v0, v183, 0x3f52af12, v173
	v_add_f32_e32 v11, v11, v186
	v_fma_f32 v189, 0x3df6dbef, v181, -v180
	v_add_f32_e32 v1, v190, v188
	s_delay_alu instid0(VALU_DEP_2)
	v_dual_add_f32 v9, v0, v9 :: v_dual_add_f32 v0, v189, v187
	s_and_saveexec_b32 s1, vcc_lo
	s_cbranch_execz .LBB0_13
; %bb.12:
	v_mul_f32_e32 v185, 0x3f62ad3f, v141
	v_mul_f32_e32 v187, 0x3f116cb1, v141
	;; [unrolled: 1-line block ×9, first 2 shown]
	v_dual_mul_f32 v211, 0x3f62ad3f, v163 :: v_dual_mul_f32 v232, 0x3f62ad3f, v176
	v_mul_f32_e32 v213, 0x3f116cb1, v163
	v_mul_f32_e32 v163, 0xbf3f9e67, v163
	;; [unrolled: 1-line block ×15, first 2 shown]
	s_delay_alu instid0(VALU_DEP_4)
	v_dual_mul_f32 v206, 0xbf7e222b, v164 :: v_dual_add_f32 v143, v154, v143
	v_mul_f32_e32 v200, 0xbe750f2a, v155
	v_mul_f32_e32 v208, 0xbe750f2a, v164
	;; [unrolled: 1-line block ×10, first 2 shown]
	v_dual_mul_f32 v220, 0x3eedf032, v172 :: v_dual_mul_f32 v233, 0x3eedf032, v177
	v_mul_f32_e32 v164, 0xbf29c268, v164
	v_mul_f32_e32 v188, 0xbf52af12, v142
	v_mul_f32_e32 v222, 0xbf7e222b, v172
	v_dual_mul_f32 v224, 0x3e750f2a, v172 :: v_dual_mul_f32 v231, 0x3e750f2a, v177
	v_mul_f32_e32 v172, 0x3f52af12, v172
	v_mul_f32_e32 v190, 0xbf7e222b, v142
	;; [unrolled: 1-line block ×4, first 2 shown]
	v_sub_f32_e32 v153, v153, v155
	v_mul_f32_e32 v225, 0xbf3f9e67, v176
	s_delay_alu instid0(VALU_DEP_4) | instskip(SKIP_3) | instid1(VALU_DEP_4)
	v_dual_mul_f32 v155, 0xbeb58ec6, v176 :: v_dual_sub_f32 v138, v138, v142
	v_mul_f32_e32 v191, 0xbeb58ec6, v141
	v_mul_f32_e32 v142, 0xbf788fa5, v176
	;; [unrolled: 1-line block ×3, first 2 shown]
	v_dual_mul_f32 v229, 0x3f116cb1, v176 :: v_dual_add_f32 v138, v49, v138
	v_mul_f32_e32 v193, 0xbf3f9e67, v141
	v_mul_f32_e32 v141, 0xbf788fa5, v141
	;; [unrolled: 1-line block ×4, first 2 shown]
	v_dual_add_f32 v138, v153, v138 :: v_dual_sub_f32 v153, v166, v164
	s_delay_alu instid0(VALU_DEP_4) | instskip(SKIP_1) | instid1(VALU_DEP_3)
	v_dual_add_f32 v129, v141, v129 :: v_dual_sub_f32 v126, v126, v194
	v_add_f32_e32 v121, v193, v121
	v_dual_mul_f32 v141, 0x3df6dbef, v181 :: v_dual_add_f32 v138, v153, v138
	s_delay_alu instid0(VALU_DEP_3) | instskip(NEXT) | instid1(VALU_DEP_3)
	v_dual_sub_f32 v153, v174, v172 :: v_dual_add_f32 v154, v49, v126
	v_add_f32_e32 v121, v48, v121
	v_sub_f32_e32 v140, v140, v204
	v_mul_f32_e32 v227, 0x3df6dbef, v176
	v_dual_mul_f32 v176, 0xbf6f5d39, v177 :: v_dual_add_f32 v141, v141, v180
	v_dual_add_f32 v138, v153, v138 :: v_dual_add_f32 v129, v48, v129
	s_delay_alu instid0(VALU_DEP_2) | instskip(SKIP_2) | instid1(VALU_DEP_3)
	v_dual_add_f32 v140, v140, v154 :: v_dual_sub_f32 v153, v182, v176
	v_mul_f32_e32 v176, 0x3f7e222b, v183
	v_dual_mul_f32 v228, 0x3f7e222b, v177 :: v_dual_sub_f32 v117, v117, v192
	v_dual_add_f32 v129, v143, v129 :: v_dual_add_f32 v138, v153, v138
	s_delay_alu instid0(VALU_DEP_3) | instskip(SKIP_1) | instid1(VALU_DEP_4)
	v_sub_f32_e32 v153, v184, v176
	v_dual_mul_f32 v237, 0xbeb58ec6, v181 :: v_dual_add_f32 v106, v191, v106
	v_dual_add_f32 v117, v49, v117 :: v_dual_sub_f32 v70, v70, v190
	s_delay_alu instid0(VALU_DEP_3) | instskip(SKIP_4) | instid1(VALU_DEP_4)
	v_add_f32_e32 v126, v153, v138
	v_add_f32_e32 v138, v163, v156
	v_sub_f32_e32 v120, v120, v200
	v_dual_mul_f32 v172, 0x3f116cb1, v181 :: v_dual_add_f32 v123, v209, v123
	v_sub_f32_e32 v71, v71, v198
	v_add_f32_e32 v129, v138, v129
	v_add_f32_e32 v138, v170, v165
	;; [unrolled: 1-line block ×3, first 2 shown]
	v_dual_mul_f32 v174, 0x3f52af12, v183 :: v_dual_add_f32 v125, v201, v125
	s_delay_alu instid0(VALU_DEP_3) | instskip(SKIP_1) | instid1(VALU_DEP_4)
	v_dual_sub_f32 v64, v64, v188 :: v_dual_add_f32 v129, v138, v129
	v_sub_f32_e32 v143, v152, v214
	v_dual_add_f32 v121, v136, v121 :: v_dual_add_f32 v136, v213, v148
	v_dual_mul_f32 v230, 0xbf52af12, v177 :: v_dual_sub_f32 v127, v127, v202
	s_delay_alu instid0(VALU_DEP_3) | instskip(SKIP_1) | instid1(VALU_DEP_4)
	v_add_f32_e32 v140, v143, v140
	v_sub_f32_e32 v143, v162, v224
	v_dual_add_f32 v121, v136, v121 :: v_dual_mul_f32 v166, 0x3eedf032, v183
	s_delay_alu instid0(VALU_DEP_4) | instskip(SKIP_1) | instid1(VALU_DEP_4)
	v_add_f32_e32 v117, v127, v117
	v_sub_f32_e32 v127, v139, v212
	v_dual_add_f32 v140, v143, v140 :: v_dual_mul_f32 v177, 0xbf788fa5, v181
	v_add_f32_e32 v136, v223, v160
	v_sub_f32_e32 v143, v171, v233
	v_mul_f32_e32 v235, 0xbf3f9e67, v181
	v_add_f32_e32 v117, v127, v117
	v_add_f32_e32 v116, v199, v116
	;; [unrolled: 1-line block ×4, first 2 shown]
	v_dual_add_f32 v63, v187, v63 :: v_dual_mul_f32 v164, 0x3f62ad3f, v181
	v_add_f32_e32 v114, v114, v49
	s_delay_alu instid0(VALU_DEP_3)
	v_dual_add_f32 v110, v48, v110 :: v_dual_add_f32 v129, v138, v129
	v_dual_add_f32 v138, v143, v140 :: v_dual_add_f32 v143, v232, v169
	v_sub_f32_e32 v127, v151, v222
	v_sub_f32_e32 v140, v179, v238
	v_add_f32_e32 v106, v48, v106
	v_mul_f32_e32 v234, 0xbe750f2a, v183
	v_add_f32_e32 v136, v143, v136
	v_add_f32_e32 v117, v127, v117
	;; [unrolled: 1-line block ×3, first 2 shown]
	v_sub_f32_e32 v127, v161, v231
	v_add_f32_e32 v138, v237, v178
	v_add_f32_e32 v106, v125, v106
	v_dual_add_f32 v125, v211, v134 :: v_dual_add_f32 v134, v189, v67
	s_delay_alu instid0(VALU_DEP_4) | instskip(SKIP_2) | instid1(VALU_DEP_4)
	v_add_f32_e32 v117, v127, v117
	v_sub_f32_e32 v127, v173, v174
	v_add_f32_e32 v70, v49, v70
	v_dual_add_f32 v106, v125, v106 :: v_dual_add_f32 v63, v48, v63
	v_add_f32_e32 v51, v51, v114
	s_delay_alu instid0(VALU_DEP_4) | instskip(NEXT) | instid1(VALU_DEP_4)
	v_add_f32_e32 v67, v127, v117
	v_dual_add_f32 v125, v221, v149 :: v_dual_add_f32 v70, v120, v70
	v_dual_sub_f32 v120, v131, v210 :: v_dual_sub_f32 v131, v145, v220
	v_sub_f32_e32 v117, v157, v230
	s_delay_alu instid0(VALU_DEP_3) | instskip(NEXT) | instid1(VALU_DEP_3)
	v_dual_add_f32 v127, v172, v168 :: v_dual_add_f32 v106, v125, v106
	v_dual_add_f32 v70, v120, v70 :: v_dual_add_f32 v125, v142, v159
	v_add_f32_e32 v114, v227, v132
	v_add_f32_e32 v110, v21, v110
	v_add_f32_e32 v50, v50, v51
	s_delay_alu instid0(VALU_DEP_4) | instskip(SKIP_1) | instid1(VALU_DEP_4)
	v_add_f32_e32 v70, v131, v70
	v_dual_sub_f32 v59, v59, v186 :: v_dual_add_f32 v120, v138, v136
	v_add_f32_e32 v20, v20, v110
	s_delay_alu instid0(VALU_DEP_4) | instskip(NEXT) | instid1(VALU_DEP_4)
	v_add_f32_e32 v50, v68, v50
	v_dual_add_f32 v70, v117, v70 :: v_dual_sub_f32 v117, v167, v236
	v_add_f32_e32 v106, v125, v106
	v_add_f32_e32 v125, v48, v134
	;; [unrolled: 1-line block ×3, first 2 shown]
	v_dual_add_f32 v20, v185, v53 :: v_dual_sub_f32 v53, v55, v196
	v_add_f32_e32 v50, v61, v50
	s_delay_alu instid0(VALU_DEP_4) | instskip(SKIP_3) | instid1(VALU_DEP_4)
	v_dual_add_f32 v116, v116, v125 :: v_dual_add_f32 v125, v49, v64
	v_dual_add_f32 v64, v117, v70 :: v_dual_sub_f32 v117, v119, v208
	v_add_f32_e32 v16, v16, v17
	v_add_f32_e32 v17, v48, v20
	;; [unrolled: 1-line block ×3, first 2 shown]
	v_dual_add_f32 v20, v195, v54 :: v_dual_add_f32 v125, v141, v129
	s_delay_alu instid0(VALU_DEP_4) | instskip(NEXT) | instid1(VALU_DEP_3)
	v_dual_add_f32 v16, v19, v16 :: v_dual_sub_f32 v19, v66, v206
	v_dual_add_f32 v71, v117, v71 :: v_dual_add_f32 v70, v123, v116
	v_dual_add_f32 v116, v219, v133 :: v_dual_sub_f32 v117, v130, v218
	v_add_f32_e32 v69, v197, v69
	v_add_f32_e32 v17, v20, v17
	;; [unrolled: 1-line block ×3, first 2 shown]
	s_delay_alu instid0(VALU_DEP_4)
	v_add_f32_e32 v70, v116, v70
	v_add_f32_e32 v116, v229, v147
	;; [unrolled: 1-line block ×5, first 2 shown]
	v_sub_f32_e32 v117, v144, v228
	v_add_f32_e32 v70, v116, v70
	s_delay_alu instid0(VALU_DEP_4) | instskip(SKIP_1) | instid1(VALU_DEP_4)
	v_dual_add_f32 v116, v235, v158 :: v_dual_add_f32 v63, v69, v63
	v_add_f32_e32 v69, v217, v128
	v_add_f32_e32 v71, v117, v71
	v_sub_f32_e32 v117, v150, v166
	v_dual_add_f32 v49, v49, v59 :: v_dual_add_f32 v16, v18, v16
	s_delay_alu instid0(VALU_DEP_4) | instskip(SKIP_1) | instid1(VALU_DEP_4)
	v_add_f32_e32 v69, v69, v63
	v_add_f32_e32 v63, v116, v70
	;; [unrolled: 1-line block ×3, first 2 shown]
	s_delay_alu instid0(VALU_DEP_4) | instskip(NEXT) | instid1(VALU_DEP_4)
	v_dual_add_f32 v48, v53, v49 :: v_dual_add_f32 v49, v60, v50
	v_add_f32_e32 v51, v114, v69
	v_dual_add_f32 v69, v164, v146 :: v_dual_add_f32 v16, v22, v16
	v_add_f32_e32 v17, v20, v17
	v_add_f32_e32 v22, v215, v105
	;; [unrolled: 1-line block ×3, first 2 shown]
	v_sub_f32_e32 v19, v115, v216
	v_add_f32_e32 v16, v23, v16
	v_mul_u32_u24_e32 v48, 0x82, v111
	v_dual_add_f32 v17, v22, v17 :: v_dual_add_f32 v22, v225, v122
	s_delay_alu instid0(VALU_DEP_4) | instskip(SKIP_2) | instid1(VALU_DEP_3)
	v_dual_add_f32 v49, v62, v49 :: v_dual_add_f32 v18, v19, v18
	v_sub_f32_e32 v19, v124, v226
	v_add_f32_e32 v66, v127, v106
	v_add_f32_e32 v20, v56, v49
	s_delay_alu instid0(VALU_DEP_3) | instskip(SKIP_2) | instid1(VALU_DEP_4)
	v_add_f32_e32 v18, v19, v18
	v_sub_f32_e32 v19, v137, v234
	v_add_f32_e32 v16, v57, v16
	v_add_f32_e32 v20, v58, v20
	s_delay_alu instid0(VALU_DEP_1) | instskip(NEXT) | instid1(VALU_DEP_4)
	v_add_f32_e32 v12, v12, v20
	v_dual_add_f32 v20, v22, v17 :: v_dual_add_f32 v17, v19, v18
	s_delay_alu instid0(VALU_DEP_4) | instskip(NEXT) | instid1(VALU_DEP_1)
	v_dual_add_f32 v22, v177, v135 :: v_dual_add_f32 v23, v14, v16
	v_dual_add_f32 v12, v52, v12 :: v_dual_add_f32 v13, v13, v23
	s_delay_alu instid0(VALU_DEP_2) | instskip(NEXT) | instid1(VALU_DEP_2)
	v_add_f32_e32 v16, v22, v20
	v_add_f32_e32 v14, v15, v12
	v_add_lshl_u32 v12, v48, v109, 3
	v_add_f32_e32 v20, v69, v51
	ds_store_2addr_b64 v12, v[13:14], v[16:17] offset1:10
	ds_store_2addr_b64 v12, v[20:21], v[63:64] offset0:20 offset1:30
	ds_store_2addr_b64 v12, v[66:67], v[120:121] offset0:40 offset1:50
	;; [unrolled: 1-line block ×5, first 2 shown]
	ds_store_b64 v12, v[2:3] offset:960
.LBB0_13:
	s_wait_alu 0xfffe
	s_or_b32 exec_lo, exec_lo, s1
	global_wb scope:SCOPE_SE
	s_wait_dscnt 0x0
	s_barrier_signal -1
	s_barrier_wait -1
	global_inv scope:SCOPE_SE
	ds_load_b64 v[12:13], v108
	ds_load_b64 v[48:49], v108 offset:2080
	ds_load_b64 v[22:23], v108 offset:4160
	;; [unrolled: 1-line block ×6, first 2 shown]
	s_and_saveexec_b32 s1, s0
	s_cbranch_execz .LBB0_15
; %bb.14:
	ds_load_b64 v[0:1], v108 offset:1456
	ds_load_b64 v[10:11], v108 offset:3536
	;; [unrolled: 1-line block ×7, first 2 shown]
.LBB0_15:
	s_wait_alu 0xfffe
	s_or_b32 exec_lo, exec_lo, s1
	s_wait_dscnt 0x4
	v_dual_mul_f32 v50, v45, v49 :: v_dual_mul_f32 v51, v47, v23
	v_mul_f32_e32 v45, v45, v48
	v_mul_f32_e32 v47, v47, v22
	global_wb scope:SCOPE_SE
	s_wait_dscnt 0x0
	v_fmac_f32_e32 v50, v44, v48
	v_mul_f32_e32 v48, v43, v17
	v_fma_f32 v44, v44, v49, -v45
	v_mul_f32_e32 v45, v41, v21
	v_mul_f32_e32 v41, v41, v20
	v_fmac_f32_e32 v51, v46, v22
	v_fma_f32 v22, v46, v23, -v47
	v_fmac_f32_e32 v48, v42, v16
	v_mul_f32_e32 v16, v43, v16
	v_fmac_f32_e32 v45, v40, v20
	v_fma_f32 v20, v40, v21, -v41
	v_mul_f32_e32 v21, v39, v19
	v_mul_f32_e32 v23, v39, v18
	v_mul_f32_e32 v39, v37, v15
	v_fma_f32 v16, v42, v17, -v16
	v_mul_f32_e32 v37, v37, v14
	s_barrier_signal -1
	s_barrier_wait -1
	v_fmac_f32_e32 v39, v36, v14
	global_inv scope:SCOPE_SE
	v_fma_f32 v14, v36, v15, -v37
	v_dual_sub_f32 v36, v51, v39 :: v_dual_fmac_f32 v21, v38, v18
	v_fma_f32 v18, v38, v19, -v23
	s_delay_alu instid0(VALU_DEP_3) | instskip(SKIP_2) | instid1(VALU_DEP_4)
	v_add_f32_e32 v23, v22, v14
	v_sub_f32_e32 v14, v22, v14
	v_sub_f32_e32 v38, v48, v45
	v_dual_add_f32 v22, v45, v48 :: v_dual_add_f32 v17, v44, v18
	v_sub_f32_e32 v18, v44, v18
	v_add_f32_e32 v37, v20, v16
	v_sub_f32_e32 v16, v16, v20
	v_add_f32_e32 v42, v38, v36
	s_delay_alu instid0(VALU_DEP_2) | instskip(SKIP_4) | instid1(VALU_DEP_4)
	v_dual_sub_f32 v44, v38, v36 :: v_dual_sub_f32 v45, v16, v14
	v_add_f32_e32 v43, v16, v14
	v_sub_f32_e32 v14, v14, v18
	v_sub_f32_e32 v19, v50, v21
	;; [unrolled: 1-line block ×3, first 2 shown]
	v_dual_add_f32 v18, v43, v18 :: v_dual_mul_f32 v43, 0x3f08b237, v45
	s_delay_alu instid0(VALU_DEP_3) | instskip(SKIP_2) | instid1(VALU_DEP_1)
	v_dual_sub_f32 v36, v36, v19 :: v_dual_add_f32 v15, v50, v21
	v_sub_f32_e32 v38, v19, v38
	v_add_f32_e32 v21, v51, v39
	v_add_f32_e32 v20, v21, v15
	v_dual_sub_f32 v40, v21, v15 :: v_dual_sub_f32 v15, v15, v22
	s_delay_alu instid0(VALU_DEP_1) | instskip(NEXT) | instid1(VALU_DEP_1)
	v_dual_add_f32 v20, v22, v20 :: v_dual_mul_f32 v15, 0x3f4a47b2, v15
	v_dual_add_f32 v12, v12, v20 :: v_dual_add_f32 v39, v23, v17
	v_sub_f32_e32 v21, v22, v21
	v_sub_f32_e32 v41, v23, v17
	s_delay_alu instid0(VALU_DEP_3) | instskip(NEXT) | instid1(VALU_DEP_4)
	v_dual_sub_f32 v17, v17, v37 :: v_dual_fmamk_f32 v20, v20, 0xbf955555, v12
	v_add_f32_e32 v22, v37, v39
	s_delay_alu instid0(VALU_DEP_1)
	v_add_f32_e32 v13, v13, v22
	v_sub_f32_e32 v23, v37, v23
	v_mul_f32_e32 v37, 0x3d64c772, v21
	v_fmamk_f32 v21, v21, 0x3d64c772, v15
	v_dual_add_f32 v19, v42, v19 :: v_dual_mul_f32 v42, 0x3f08b237, v44
	v_mul_f32_e32 v44, 0xbf5ff5aa, v36
	s_delay_alu instid0(VALU_DEP_4) | instskip(SKIP_1) | instid1(VALU_DEP_4)
	v_fma_f32 v37, 0x3f3bfb3b, v40, -v37
	v_fma_f32 v15, 0xbf3bfb3b, v40, -v15
	v_fmamk_f32 v40, v38, 0xbeae86e6, v42
	v_fma_f32 v36, 0xbf5ff5aa, v36, -v42
	v_fma_f32 v42, 0xbf5ff5aa, v14, -v43
	v_fmamk_f32 v22, v22, 0xbf955555, v13
	v_fma_f32 v38, 0x3eae86e6, v38, -v44
	v_add_f32_e32 v44, v21, v20
	v_dual_add_f32 v21, v37, v20 :: v_dual_fmac_f32 v36, 0xbee1c552, v19
	v_dual_add_f32 v37, v15, v20 :: v_dual_fmac_f32 v42, 0xbee1c552, v18
	v_mul_f32_e32 v17, 0x3f4a47b2, v17
	v_mul_f32_e32 v39, 0x3d64c772, v23
	;; [unrolled: 1-line block ×3, first 2 shown]
	v_fmac_f32_e32 v40, 0xbee1c552, v19
	s_delay_alu instid0(VALU_DEP_4) | instskip(NEXT) | instid1(VALU_DEP_4)
	v_dual_add_f32 v20, v42, v21 :: v_dual_fmamk_f32 v23, v23, 0x3d64c772, v17
	v_fma_f32 v39, 0x3f3bfb3b, v41, -v39
	v_fma_f32 v17, 0xbf3bfb3b, v41, -v17
	v_fmamk_f32 v41, v16, 0xbeae86e6, v43
	v_fma_f32 v43, 0x3eae86e6, v16, -v45
	v_add_f32_e32 v45, v23, v22
	v_dual_add_f32 v23, v39, v22 :: v_dual_fmac_f32 v38, 0xbee1c552, v19
	s_delay_alu instid0(VALU_DEP_4) | instskip(SKIP_4) | instid1(VALU_DEP_4)
	v_fmac_f32_e32 v41, 0xbee1c552, v18
	v_add_f32_e32 v39, v17, v22
	v_fmac_f32_e32 v43, 0xbee1c552, v18
	v_sub_f32_e32 v15, v45, v40
	v_sub_f32_e32 v18, v21, v42
	v_dual_add_f32 v14, v41, v44 :: v_dual_sub_f32 v17, v39, v38
	s_delay_alu instid0(VALU_DEP_4)
	v_dual_add_f32 v16, v43, v37 :: v_dual_add_f32 v19, v36, v23
	v_sub_f32_e32 v21, v23, v36
	v_dual_add_f32 v23, v38, v39 :: v_dual_add_nc_u32 v38, 0x800, v112
	v_dual_sub_f32 v22, v37, v43 :: v_dual_add_nc_u32 v39, 0x1000, v112
	v_sub_f32_e32 v36, v44, v41
	v_add_f32_e32 v37, v40, v45
	ds_store_2addr_b64 v112, v[12:13], v[14:15] offset1:130
	ds_store_2addr_b64 v38, v[16:17], v[18:19] offset0:4 offset1:134
	ds_store_2addr_b64 v39, v[20:21], v[22:23] offset0:8 offset1:138
	ds_store_b64 v112, v[36:37] offset:6240
	s_and_saveexec_b32 s1, s0
	s_cbranch_execz .LBB0_17
; %bb.16:
	v_dual_mul_f32 v12, v29, v11 :: v_dual_mul_f32 v13, v27, v5
	v_dual_mul_f32 v16, v33, v3 :: v_dual_mul_f32 v17, v35, v104
	;; [unrolled: 1-line block ×3, first 2 shown]
	s_delay_alu instid0(VALU_DEP_3) | instskip(NEXT) | instid1(VALU_DEP_2)
	v_dual_fmac_f32 v12, v28, v10 :: v_dual_fmac_f32 v13, v26, v4
	v_dual_fmac_f32 v17, v34, v103 :: v_dual_fmac_f32 v14, v24, v6
	s_delay_alu instid0(VALU_DEP_3) | instskip(SKIP_1) | instid1(VALU_DEP_3)
	v_dual_mul_f32 v20, v35, v103 :: v_dual_fmac_f32 v15, v30, v8
	v_fmac_f32_e32 v16, v32, v2
	v_dual_sub_f32 v21, v12, v17 :: v_dual_mul_f32 v2, v33, v2
	s_delay_alu instid0(VALU_DEP_3) | instskip(SKIP_1) | instid1(VALU_DEP_4)
	v_fma_f32 v20, v34, v104, -v20
	v_mul_f32_e32 v8, v31, v8
	v_dual_sub_f32 v18, v13, v14 :: v_dual_sub_f32 v19, v15, v16
	v_mul_f32_e32 v4, v27, v4
	v_fma_f32 v2, v32, v3, -v2
	s_delay_alu instid0(VALU_DEP_4)
	v_fma_f32 v3, v30, v9, -v8
	v_mul_f32_e32 v10, v29, v10
	v_dual_sub_f32 v22, v18, v19 :: v_dual_sub_f32 v23, v21, v18
	v_dual_mul_f32 v6, v25, v6 :: v_dual_add_f32 v15, v16, v15
	v_fma_f32 v4, v26, v5, -v4
	v_add_f32_e32 v5, v2, v3
	v_fma_f32 v10, v28, v11, -v10
	v_add_f32_e32 v8, v18, v19
	v_mul_f32_e32 v22, 0x3f08b237, v22
	v_fma_f32 v6, v24, v7, -v6
	v_dual_add_f32 v12, v17, v12 :: v_dual_sub_f32 v19, v19, v21
	v_add_f32_e32 v9, v20, v10
	s_delay_alu instid0(VALU_DEP_4) | instskip(SKIP_1) | instid1(VALU_DEP_3)
	v_dual_add_f32 v7, v8, v21 :: v_dual_fmamk_f32 v18, v23, 0xbeae86e6, v22
	v_add_f32_e32 v13, v14, v13
	v_dual_add_f32 v8, v6, v4 :: v_dual_add_f32 v11, v5, v9
	v_add_f32_e32 v14, v15, v12
	v_sub_f32_e32 v4, v4, v6
	v_sub_f32_e32 v2, v3, v2
	v_fmac_f32_e32 v18, 0xbee1c552, v7
	s_delay_alu instid0(VALU_DEP_4) | instskip(NEXT) | instid1(VALU_DEP_3)
	v_dual_add_f32 v11, v8, v11 :: v_dual_add_f32 v14, v13, v14
	v_dual_sub_f32 v10, v10, v20 :: v_dual_sub_f32 v3, v4, v2
	s_delay_alu instid0(VALU_DEP_2)
	v_add_f32_e32 v1, v1, v11
	v_sub_f32_e32 v24, v9, v8
	v_sub_f32_e32 v8, v8, v5
	;; [unrolled: 1-line block ×3, first 2 shown]
	v_dual_sub_f32 v9, v15, v12 :: v_dual_add_f32 v0, v0, v14
	v_mul_f32_e32 v25, 0x3f08b237, v3
	s_delay_alu instid0(VALU_DEP_2) | instskip(SKIP_2) | instid1(VALU_DEP_2)
	v_dual_fmamk_f32 v11, v11, 0xbf955555, v1 :: v_dual_fmamk_f32 v14, v14, 0xbf955555, v0
	v_mul_f32_e32 v16, 0x3f4a47b2, v24
	v_dual_sub_f32 v24, v12, v13 :: v_dual_sub_f32 v13, v13, v15
	v_dual_mul_f32 v17, 0x3d64c772, v8 :: v_dual_fmamk_f32 v8, v8, 0x3d64c772, v16
	s_delay_alu instid0(VALU_DEP_1) | instskip(NEXT) | instid1(VALU_DEP_1)
	v_add_f32_e32 v20, v8, v11
	v_add_f32_e32 v3, v18, v20
	s_delay_alu instid0(VALU_DEP_4) | instskip(SKIP_1) | instid1(VALU_DEP_2)
	v_mul_f32_e32 v6, 0x3f4a47b2, v24
	v_sub_f32_e32 v24, v10, v4
	v_dual_fmamk_f32 v8, v13, 0x3d64c772, v6 :: v_dual_mul_f32 v13, 0x3d64c772, v13
	v_fma_f32 v6, 0xbf3bfb3b, v9, -v6
	s_delay_alu instid0(VALU_DEP_2) | instskip(NEXT) | instid1(VALU_DEP_1)
	v_dual_add_f32 v21, v8, v14 :: v_dual_mul_f32 v8, 0xbf5ff5aa, v19
	v_fma_f32 v15, 0x3eae86e6, v23, -v8
	s_delay_alu instid0(VALU_DEP_1) | instskip(SKIP_2) | instid1(VALU_DEP_3)
	v_dual_fmac_f32 v15, 0xbee1c552, v7 :: v_dual_sub_f32 v12, v2, v10
	v_add_f32_e32 v2, v4, v2
	v_fma_f32 v4, 0xbf3bfb3b, v5, -v16
	v_mul_f32_e32 v8, 0xbf5ff5aa, v12
	s_delay_alu instid0(VALU_DEP_3) | instskip(NEXT) | instid1(VALU_DEP_3)
	v_add_f32_e32 v2, v2, v10
	v_add_f32_e32 v10, v4, v11
	v_fma_f32 v4, 0x3f3bfb3b, v5, -v17
	v_fma_f32 v12, 0xbf5ff5aa, v12, -v25
	v_fma_f32 v23, 0x3eae86e6, v24, -v8
	v_fma_f32 v8, 0xbf5ff5aa, v19, -v22
	v_fma_f32 v5, 0x3f3bfb3b, v9, -v13
	s_delay_alu instid0(VALU_DEP_4) | instskip(NEXT) | instid1(VALU_DEP_3)
	v_dual_add_f32 v9, v4, v11 :: v_dual_fmac_f32 v12, 0xbee1c552, v2
	v_dual_fmac_f32 v23, 0xbee1c552, v2 :: v_dual_fmac_f32 v8, 0xbee1c552, v7
	s_delay_alu instid0(VALU_DEP_1)
	v_sub_f32_e32 v7, v9, v8
	v_add_f32_e32 v9, v8, v9
	v_add_f32_e32 v11, v5, v14
	v_sub_f32_e32 v13, v20, v18
	v_fmamk_f32 v26, v24, 0xbeae86e6, v25
	v_add_f32_e32 v16, v6, v14
	v_lshlrev_b32_e32 v14, 3, v113
	v_add_f32_e32 v6, v12, v11
	v_dual_sub_f32 v8, v11, v12 :: v_dual_sub_f32 v11, v10, v15
	v_fmac_f32_e32 v26, 0xbee1c552, v2
	v_add_f32_e32 v5, v15, v10
	v_dual_sub_f32 v4, v16, v23 :: v_dual_add_nc_u32 v15, 0x1c00, v14
	s_delay_alu instid0(VALU_DEP_3)
	v_dual_add_f32 v12, v26, v21 :: v_dual_add_nc_u32 v17, 0x2c00, v14
	v_add_f32_e32 v10, v23, v16
	v_add_nc_u32_e32 v16, 0x2400, v14
	v_sub_f32_e32 v2, v21, v26
	ds_store_2addr_b64 v15, v[0:1], v[12:13] offset0:14 offset1:144
	ds_store_2addr_b64 v16, v[10:11], v[8:9] offset0:18 offset1:148
	;; [unrolled: 1-line block ×3, first 2 shown]
	ds_store_b64 v14, v[2:3] offset:13520
.LBB0_17:
	s_wait_alu 0xfffe
	s_or_b32 exec_lo, exec_lo, s1
	v_add_nc_u32_e32 v22, 0x1600, v108
	global_wb scope:SCOPE_SE
	s_wait_dscnt 0x0
	s_barrier_signal -1
	s_barrier_wait -1
	global_inv scope:SCOPE_SE
	ds_load_2addr_b64 v[0:3], v22 offset0:24 offset1:206
	v_add_nc_u32_e32 v23, 0x2000, v108
	v_add_nc_u32_e32 v26, 0x2c00, v108
	s_mov_b32 s0, 0x12012012
	s_mov_b32 s1, 0x3f420120
	v_mad_co_u64_u32 v[42:43], null, s4, v107, 0
	s_wait_dscnt 0x0
	v_mul_f32_e32 v20, v94, v3
	ds_load_2addr_b64 v[4:7], v23 offset0:68 offset1:250
	ds_load_2addr_b64 v[8:11], v26 offset0:48 offset1:230
	v_dual_mul_f32 v21, v94, v2 :: v_dual_add_nc_u32 v24, 0xa00, v108
	s_delay_alu instid0(VALU_DEP_1)
	v_fma_f32 v3, v93, v3, -v21
	s_wait_dscnt 0x1
	v_mul_f32_e32 v29, v98, v6
	ds_load_2addr_b64 v[12:15], v108 offset1:182
	ds_load_2addr_b64 v[16:19], v24 offset0:44 offset1:226
	v_mul_f32_e32 v25, v96, v5
	v_dual_mul_f32 v27, v96, v4 :: v_dual_mul_f32 v28, v98, v7
	s_wait_dscnt 0x2
	v_dual_mul_f32 v30, v100, v9 :: v_dual_mul_f32 v33, v102, v10
	v_dual_mul_f32 v31, v100, v8 :: v_dual_mul_f32 v32, v102, v11
	v_dual_fmac_f32 v20, v93, v2 :: v_dual_fmac_f32 v25, v95, v4
	v_fma_f32 v5, v95, v5, -v27
	v_fmac_f32_e32 v28, v97, v6
	v_fma_f32 v7, v97, v7, -v29
	v_fmac_f32_e32 v30, v99, v8
	v_fma_f32 v21, v99, v9, -v31
	v_fma_f32 v27, v101, v11, -v33
	v_fmac_f32_e32 v32, v101, v10
	s_wait_dscnt 0x1
	v_sub_f32_e32 v4, v14, v25
	v_dual_sub_f32 v5, v15, v5 :: v_dual_sub_f32 v2, v12, v20
	s_wait_dscnt 0x0
	v_sub_f32_e32 v7, v17, v7
	v_dual_sub_f32 v3, v13, v3 :: v_dual_sub_f32 v6, v16, v28
	s_delay_alu instid0(VALU_DEP_3)
	v_fma_f32 v11, v15, 2.0, -v5
	v_sub_f32_e32 v15, v19, v21
	v_sub_f32_e32 v21, v1, v27
	v_fma_f32 v10, v14, 2.0, -v4
	v_sub_f32_e32 v14, v18, v30
	v_sub_f32_e32 v20, v0, v32
	v_fma_f32 v8, v12, 2.0, -v2
	v_fma_f32 v9, v13, 2.0, -v3
	;; [unrolled: 1-line block ×8, first 2 shown]
	ds_store_b64 v108, v[2:3] offset:7280
	ds_store_2addr_b64 v108, v[8:9], v[10:11] offset1:182
	ds_store_2addr_b64 v23, v[4:5], v[6:7] offset0:68 offset1:250
	ds_store_2addr_b64 v24, v[12:13], v[16:17] offset0:44 offset1:226
	ds_store_b64 v108, v[0:1] offset:5824
	ds_store_2addr_b64 v26, v[14:15], v[20:21] offset0:48 offset1:230
	global_wb scope:SCOPE_SE
	s_wait_dscnt 0x0
	s_barrier_signal -1
	s_barrier_wait -1
	global_inv scope:SCOPE_SE
	ds_load_2addr_b64 v[0:3], v108 offset1:182
	ds_load_2addr_b64 v[4:7], v24 offset0:44 offset1:226
	ds_load_2addr_b64 v[8:11], v22 offset0:24 offset1:206
	v_mad_co_u64_u32 v[12:13], null, s6, v72, 0
	s_wait_dscnt 0x2
	v_mul_f32_e32 v15, v92, v0
	s_wait_dscnt 0x1
	v_dual_mul_f32 v27, v82, v7 :: v_dual_mul_f32 v14, v92, v1
	s_wait_dscnt 0x0
	v_mul_f32_e32 v33, v76, v10
	v_mul_f32_e32 v22, v80, v5
	v_fma_f32 v1, v91, v1, -v15
	v_dual_fmac_f32 v27, v81, v6 :: v_dual_fmac_f32 v14, v91, v0
	v_dual_mul_f32 v18, v90, v3 :: v_dual_mul_f32 v29, v88, v8
	s_delay_alu instid0(VALU_DEP_3) | instskip(SKIP_1) | instid1(VALU_DEP_4)
	v_cvt_f64_f32_e32 v[16:17], v1
	v_mul_f32_e32 v32, v76, v11
	v_cvt_f64_f32_e32 v[14:15], v14
	s_delay_alu instid0(VALU_DEP_4) | instskip(SKIP_1) | instid1(VALU_DEP_4)
	v_fmac_f32_e32 v18, v89, v2
	v_fma_f32 v31, v87, v9, -v29
	v_fmac_f32_e32 v32, v75, v10
	v_fma_f32 v10, v75, v11, -v33
	s_delay_alu instid0(VALU_DEP_1) | instskip(SKIP_3) | instid1(VALU_DEP_3)
	v_cvt_f64_f32_e32 v[10:11], v10
	s_wait_alu 0xfffe
	v_mul_f64_e32 v[16:17], s[0:1], v[16:17]
	v_mul_f64_e32 v[14:15], s[0:1], v[14:15]
	;; [unrolled: 1-line block ×3, first 2 shown]
	s_delay_alu instid0(VALU_DEP_2) | instskip(SKIP_2) | instid1(VALU_DEP_1)
	v_mad_co_u64_u32 v[44:45], null, s7, v72, v[13:14]
	v_fmac_f32_e32 v22, v79, v4
	v_dual_mul_f32 v4, v80, v4 :: v_dual_mov_b32 v13, v43
	v_fma_f32 v4, v79, v5, -v4
	v_mul_f32_e32 v5, v82, v6
	s_delay_alu instid0(VALU_DEP_3) | instskip(SKIP_1) | instid1(VALU_DEP_4)
	v_mad_co_u64_u32 v[45:46], null, s5, v107, v[13:14]
	v_mul_f32_e32 v28, v88, v9
	v_cvt_f64_f32_e32 v[24:25], v4
	s_delay_alu instid0(VALU_DEP_4)
	v_fma_f32 v30, v81, v7, -v5
	ds_load_2addr_b64 v[4:7], v26 offset0:48 offset1:230
	v_dual_mul_f32 v0, v90, v2 :: v_dual_mov_b32 v13, v44
	v_dual_mov_b32 v43, v45 :: v_dual_fmac_f32 v28, v87, v8
	v_cvt_f64_f32_e32 v[8:9], v27
	v_cvt_f64_f32_e32 v[26:27], v30
	;; [unrolled: 1-line block ×3, first 2 shown]
	v_cvt_f32_f64_e32 v14, v[14:15]
	v_cvt_f64_f32_e32 v[28:29], v28
	v_cvt_f32_f64_e32 v15, v[16:17]
	v_lshlrev_b64_e32 v[12:13], 3, v[12:13]
	v_lshlrev_b64_e32 v[42:43], 3, v[42:43]
	s_delay_alu instid0(VALU_DEP_2) | instskip(SKIP_1) | instid1(VALU_DEP_3)
	v_add_co_u32 v12, vcc_lo, s2, v12
	s_wait_alu 0xfffd
	v_add_co_ci_u32_e32 v13, vcc_lo, s3, v13, vcc_lo
	s_wait_dscnt 0x0
	v_mul_f32_e32 v39, v84, v4
	v_fma_f32 v20, v89, v3, -v0
	ds_load_2addr_b64 v[0:3], v23 offset0:68 offset1:250
	v_cvt_f64_f32_e32 v[22:23], v22
	v_mul_f32_e32 v38, v84, v5
	v_mul_f32_e32 v40, v86, v7
	v_cvt_f64_f32_e32 v[20:21], v20
	v_mul_f32_e32 v41, v86, v6
	v_fma_f32 v39, v83, v5, -v39
	v_fmac_f32_e32 v38, v83, v4
	v_fmac_f32_e32 v40, v85, v6
	v_add_co_u32 v12, vcc_lo, v12, v42
	v_fma_f32 v41, v85, v7, -v41
	s_delay_alu instid0(VALU_DEP_4)
	v_cvt_f64_f32_e32 v[4:5], v38
	v_cvt_f64_f32_e32 v[6:7], v39
	;; [unrolled: 1-line block ×3, first 2 shown]
	v_mul_f64_e32 v[24:25], s[0:1], v[24:25]
	v_cvt_f64_f32_e32 v[40:41], v41
	s_wait_alu 0xfffd
	v_add_co_ci_u32_e32 v13, vcc_lo, v13, v43, vcc_lo
	s_wait_dscnt 0x0
	v_mul_f32_e32 v35, v78, v0
	v_cvt_f64_f32_e32 v[18:19], v18
	v_mul_f32_e32 v36, v74, v3
	v_mul_f32_e32 v34, v78, v1
	v_mul_f64_e32 v[8:9], s[0:1], v[8:9]
	v_fma_f32 v35, v77, v1, -v35
	v_mul_f64_e32 v[26:27], s[0:1], v[26:27]
	v_fmac_f32_e32 v36, v73, v2
	v_mul_f32_e32 v2, v74, v2
	v_fmac_f32_e32 v34, v77, v0
	v_cvt_f64_f32_e32 v[0:1], v32
	v_mul_f64_e32 v[28:29], s[0:1], v[28:29]
	v_cvt_f64_f32_e32 v[36:37], v36
	v_fma_f32 v2, v73, v3, -v2
	v_cvt_f64_f32_e32 v[32:33], v34
	v_cvt_f64_f32_e32 v[34:35], v35
	v_mul_f64_e32 v[30:31], s[0:1], v[30:31]
	global_store_b64 v[12:13], v[14:15], off
	v_cvt_f64_f32_e32 v[2:3], v2
	v_mul_f64_e32 v[22:23], s[0:1], v[22:23]
	v_mul_f64_e32 v[20:21], s[0:1], v[20:21]
	;; [unrolled: 1-line block ×7, first 2 shown]
	v_cvt_f32_f64_e32 v8, v[8:9]
	v_cvt_f32_f64_e32 v9, v[26:27]
	v_mul_f64_e32 v[0:1], s[0:1], v[0:1]
	v_mul_f64_e32 v[36:37], s[0:1], v[36:37]
	;; [unrolled: 1-line block ×5, first 2 shown]
	s_mul_u64 s[0:1], s[4:5], 0x5b0
	v_cvt_f32_f64_e32 v17, v[20:21]
	v_cvt_f32_f64_e32 v20, v[22:23]
	;; [unrolled: 1-line block ×6, first 2 shown]
	s_wait_alu 0xfffe
	v_add_co_u32 v18, vcc_lo, v12, s0
	s_wait_alu 0xfffd
	v_add_co_ci_u32_e32 v19, vcc_lo, s1, v13, vcc_lo
	s_delay_alu instid0(VALU_DEP_2) | instskip(SKIP_1) | instid1(VALU_DEP_2)
	v_add_co_u32 v22, vcc_lo, v18, s0
	s_wait_alu 0xfffd
	v_add_co_ci_u32_e32 v23, vcc_lo, s1, v19, vcc_lo
	v_cvt_f32_f64_e32 v0, v[0:1]
	v_cvt_f32_f64_e32 v1, v[10:11]
	;; [unrolled: 1-line block ×10, first 2 shown]
	v_add_co_u32 v6, vcc_lo, v22, s0
	s_wait_alu 0xfffd
	v_add_co_ci_u32_e32 v7, vcc_lo, s1, v23, vcc_lo
	s_delay_alu instid0(VALU_DEP_2) | instskip(SKIP_1) | instid1(VALU_DEP_2)
	v_add_co_u32 v28, vcc_lo, v6, s0
	s_wait_alu 0xfffd
	v_add_co_ci_u32_e32 v29, vcc_lo, s1, v7, vcc_lo
	s_delay_alu instid0(VALU_DEP_2) | instskip(SKIP_1) | instid1(VALU_DEP_2)
	;; [unrolled: 4-line block ×3, first 2 shown]
	v_add_co_u32 v14, vcc_lo, v12, s0
	s_wait_alu 0xfffd
	v_add_co_ci_u32_e32 v15, vcc_lo, s1, v13, vcc_lo
	global_store_b64 v[18:19], v[16:17], off
	v_add_co_u32 v16, vcc_lo, v14, s0
	s_wait_alu 0xfffd
	v_add_co_ci_u32_e32 v17, vcc_lo, s1, v15, vcc_lo
	s_clause 0x1
	global_store_b64 v[22:23], v[20:21], off
	global_store_b64 v[6:7], v[8:9], off
	v_add_co_u32 v6, vcc_lo, v16, s0
	s_wait_alu 0xfffd
	v_add_co_ci_u32_e32 v7, vcc_lo, s1, v17, vcc_lo
	global_store_b64 v[28:29], v[24:25], off
	v_add_co_u32 v8, vcc_lo, v6, s0
	s_wait_alu 0xfffd
	v_add_co_ci_u32_e32 v9, vcc_lo, s1, v7, vcc_lo
	global_store_b64 v[12:13], v[0:1], off
	global_store_b64 v[14:15], v[10:11], off
	;; [unrolled: 1-line block ×5, first 2 shown]
.LBB0_18:
	s_nop 0
	s_sendmsg sendmsg(MSG_DEALLOC_VGPRS)
	s_endpgm
	.section	.rodata,"a",@progbits
	.p2align	6, 0x0
	.amdhsa_kernel bluestein_single_back_len1820_dim1_sp_op_CI_CI
		.amdhsa_group_segment_fixed_size 14560
		.amdhsa_private_segment_fixed_size 0
		.amdhsa_kernarg_size 104
		.amdhsa_user_sgpr_count 2
		.amdhsa_user_sgpr_dispatch_ptr 0
		.amdhsa_user_sgpr_queue_ptr 0
		.amdhsa_user_sgpr_kernarg_segment_ptr 1
		.amdhsa_user_sgpr_dispatch_id 0
		.amdhsa_user_sgpr_private_segment_size 0
		.amdhsa_wavefront_size32 1
		.amdhsa_uses_dynamic_stack 0
		.amdhsa_enable_private_segment 0
		.amdhsa_system_sgpr_workgroup_id_x 1
		.amdhsa_system_sgpr_workgroup_id_y 0
		.amdhsa_system_sgpr_workgroup_id_z 0
		.amdhsa_system_sgpr_workgroup_info 0
		.amdhsa_system_vgpr_workitem_id 0
		.amdhsa_next_free_vgpr 239
		.amdhsa_next_free_sgpr 20
		.amdhsa_reserve_vcc 1
		.amdhsa_float_round_mode_32 0
		.amdhsa_float_round_mode_16_64 0
		.amdhsa_float_denorm_mode_32 3
		.amdhsa_float_denorm_mode_16_64 3
		.amdhsa_fp16_overflow 0
		.amdhsa_workgroup_processor_mode 1
		.amdhsa_memory_ordered 1
		.amdhsa_forward_progress 0
		.amdhsa_round_robin_scheduling 0
		.amdhsa_exception_fp_ieee_invalid_op 0
		.amdhsa_exception_fp_denorm_src 0
		.amdhsa_exception_fp_ieee_div_zero 0
		.amdhsa_exception_fp_ieee_overflow 0
		.amdhsa_exception_fp_ieee_underflow 0
		.amdhsa_exception_fp_ieee_inexact 0
		.amdhsa_exception_int_div_zero 0
	.end_amdhsa_kernel
	.text
.Lfunc_end0:
	.size	bluestein_single_back_len1820_dim1_sp_op_CI_CI, .Lfunc_end0-bluestein_single_back_len1820_dim1_sp_op_CI_CI
                                        ; -- End function
	.section	.AMDGPU.csdata,"",@progbits
; Kernel info:
; codeLenInByte = 16068
; NumSgprs: 22
; NumVgprs: 239
; ScratchSize: 0
; MemoryBound: 0
; FloatMode: 240
; IeeeMode: 1
; LDSByteSize: 14560 bytes/workgroup (compile time only)
; SGPRBlocks: 2
; VGPRBlocks: 29
; NumSGPRsForWavesPerEU: 22
; NumVGPRsForWavesPerEU: 239
; Occupancy: 6
; WaveLimiterHint : 1
; COMPUTE_PGM_RSRC2:SCRATCH_EN: 0
; COMPUTE_PGM_RSRC2:USER_SGPR: 2
; COMPUTE_PGM_RSRC2:TRAP_HANDLER: 0
; COMPUTE_PGM_RSRC2:TGID_X_EN: 1
; COMPUTE_PGM_RSRC2:TGID_Y_EN: 0
; COMPUTE_PGM_RSRC2:TGID_Z_EN: 0
; COMPUTE_PGM_RSRC2:TIDIG_COMP_CNT: 0
	.text
	.p2alignl 7, 3214868480
	.fill 96, 4, 3214868480
	.type	__hip_cuid_c95ad3e1d5a25d42,@object ; @__hip_cuid_c95ad3e1d5a25d42
	.section	.bss,"aw",@nobits
	.globl	__hip_cuid_c95ad3e1d5a25d42
__hip_cuid_c95ad3e1d5a25d42:
	.byte	0                               ; 0x0
	.size	__hip_cuid_c95ad3e1d5a25d42, 1

	.ident	"AMD clang version 19.0.0git (https://github.com/RadeonOpenCompute/llvm-project roc-6.4.0 25133 c7fe45cf4b819c5991fe208aaa96edf142730f1d)"
	.section	".note.GNU-stack","",@progbits
	.addrsig
	.addrsig_sym __hip_cuid_c95ad3e1d5a25d42
	.amdgpu_metadata
---
amdhsa.kernels:
  - .args:
      - .actual_access:  read_only
        .address_space:  global
        .offset:         0
        .size:           8
        .value_kind:     global_buffer
      - .actual_access:  read_only
        .address_space:  global
        .offset:         8
        .size:           8
        .value_kind:     global_buffer
      - .actual_access:  read_only
        .address_space:  global
        .offset:         16
        .size:           8
        .value_kind:     global_buffer
      - .actual_access:  read_only
        .address_space:  global
        .offset:         24
        .size:           8
        .value_kind:     global_buffer
      - .actual_access:  read_only
        .address_space:  global
        .offset:         32
        .size:           8
        .value_kind:     global_buffer
      - .offset:         40
        .size:           8
        .value_kind:     by_value
      - .address_space:  global
        .offset:         48
        .size:           8
        .value_kind:     global_buffer
      - .address_space:  global
        .offset:         56
        .size:           8
        .value_kind:     global_buffer
      - .address_space:  global
        .offset:         64
        .size:           8
        .value_kind:     global_buffer
      - .address_space:  global
        .offset:         72
        .size:           8
        .value_kind:     global_buffer
      - .offset:         80
        .size:           4
        .value_kind:     by_value
      - .address_space:  global
        .offset:         88
        .size:           8
        .value_kind:     global_buffer
      - .address_space:  global
        .offset:         96
        .size:           8
        .value_kind:     global_buffer
    .group_segment_fixed_size: 14560
    .kernarg_segment_align: 8
    .kernarg_segment_size: 104
    .language:       OpenCL C
    .language_version:
      - 2
      - 0
    .max_flat_workgroup_size: 182
    .name:           bluestein_single_back_len1820_dim1_sp_op_CI_CI
    .private_segment_fixed_size: 0
    .sgpr_count:     22
    .sgpr_spill_count: 0
    .symbol:         bluestein_single_back_len1820_dim1_sp_op_CI_CI.kd
    .uniform_work_group_size: 1
    .uses_dynamic_stack: false
    .vgpr_count:     239
    .vgpr_spill_count: 0
    .wavefront_size: 32
    .workgroup_processor_mode: 1
amdhsa.target:   amdgcn-amd-amdhsa--gfx1201
amdhsa.version:
  - 1
  - 2
...

	.end_amdgpu_metadata
